;; amdgpu-corpus repo=ROCm/aiter kind=harvested arch=n/a opt=n/a

/root/src/amdgpu-assembly/repos/ROCm__aiter/hsa/gfx950/fmha_v3_bwd/bwd_hd192_bf16_causal_a32_rtne_psskddv.co:	file format elf64-amdgpu

Disassembly of section .text:

0000000000004000 <_ZN5aiter53fmha_bwd_hd192_bf16_causal_a32_rtne_psskddv_recompileE>:
	s_and_b32 s1, s1, 0xffff                                   // 000000004000: 8601FF01 0000FFFF
	s_load_dwordx2 s[32:33], s[0:1], 0x0                       // 000000004008: C0060800 00000000
	s_load_dwordx2 s[36:37], s[0:1], 0x10                      // 000000004010: C0060900 00000010
	s_load_dwordx2 s[40:41], s[0:1], 0x20                      // 000000004018: C0060A00 00000020
	s_load_dwordx2 s[8:9], s[0:1], 0x30                        // 000000004020: C0060200 00000030
	s_load_dwordx2 s[12:13], s[0:1], 0x40                      // 000000004028: C0060300 00000040
	s_load_dwordx2 s[16:17], s[0:1], 0x50                      // 000000004030: C0060400 00000050
	s_load_dwordx2 s[20:21], s[0:1], 0x60                      // 000000004038: C0060500 00000060
	s_load_dwordx2 s[24:25], s[0:1], 0x70                      // 000000004040: C0060600 00000070
	s_load_dwordx2 s[28:29], s[0:1], 0x80                      // 000000004048: C0060700 00000080
	s_load_dword s47, s[0:1], 0x90                             // 000000004050: C0020BC0 00000090
	s_load_dword s48, s[0:1], 0xa0                             // 000000004058: C0020C00 000000A0
	s_load_dword s49, s[0:1], 0xb0                             // 000000004060: C0020C40 000000B0
	s_load_dword s78, s[0:1], 0xd0                             // 000000004068: C0021380 000000D0
	s_load_dword s79, s[0:1], 0xe0                             // 000000004070: C00213C0 000000E0
	s_load_dword s5, s[0:1], 0xf0                              // 000000004078: C0020140 000000F0
	s_load_dword s44, s[0:1], 0x100                            // 000000004080: C0020B00 00000100
	s_load_dword s80, s[0:1], 0x110                            // 000000004088: C0021400 00000110
	s_load_dword s81, s[0:1], 0x120                            // 000000004090: C0021440 00000120
	s_load_dword s6, s[0:1], 0x130                             // 000000004098: C0020180 00000130
	s_load_dword s52, s[0:1], 0x140                            // 0000000040A0: C0020D00 00000140
	s_load_dword s50, s[0:1], 0x150                            // 0000000040A8: C0020C80 00000150
	s_load_dword s98, s[0:1], 0x160                            // 0000000040B0: C0021880 00000160
	s_load_dword s72, s[0:1], 0x180                            // 0000000040B8: C0021200 00000180
	s_load_dword s90, s[0:1], 0x190                            // 0000000040C0: C0021680 00000190
	s_load_dword s91, s[0:1], 0x1a0                            // 0000000040C8: C00216C0 000001A0
	s_load_dword s7, s[0:1], 0x1b0                             // 0000000040D0: C00201C0 000001B0
	s_load_dword s92, s[0:1], 0x1c0                            // 0000000040D8: C0021700 000001C0
	s_load_dword s93, s[0:1], 0x1d0                            // 0000000040E0: C0021740 000001D0
	s_load_dword s51, s[0:1], 0x1e0                            // 0000000040E8: C0020CC0 000001E0
	s_load_dword s94, s[0:1], 0x1f0                            // 0000000040F0: C0021780 000001F0
	s_load_dword s95, s[0:1], 0x200                            // 0000000040F8: C00217C0 00000200
	s_load_dword s96, s[0:1], 0x210                            // 000000004100: C0021800 00000210
	s_load_dword s97, s[0:1], 0x220                            // 000000004108: C0021840 00000220
	s_load_dword s53, s[0:1], 0x230                            // 000000004110: C0020D40 00000230
	v_lshrrev_b32_e32 v1, 10, v0                               // 000000004118: 2002008A
	v_lshrrev_b32_e32 v2, 10, v1                               // 00000000411C: 2004028A
	v_and_b32_e32 v2, 0x3ff, v2                                // 000000004120: 260404FF 000003FF
	v_and_b32_e32 v1, 0x3ff, v1                                // 000000004128: 260202FF 000003FF
	v_and_b32_e32 v0, 0x3ff, v0                                // 000000004130: 260000FF 000003FF
	v_lshrrev_b32_e32 v3, 6, v0                                // 000000004138: 20060086
	v_and_b32_e32 v0, 63, v0                                   // 00000000413C: 260000BF
	s_mov_b32 s2, s2                                           // 000000004140: BE820002
	s_mov_b32 s3, s3                                           // 000000004144: BE830003
	s_mov_b32 s4, s4                                           // 000000004148: BE840004
	v_readfirstlane_b32 s46, v3                                // 00000000414C: 7E5C0503
	s_waitcnt lgkmcnt(0)                                       // 000000004150: BF8CC07F
	s_mov_b32 s11, 0x20000                                     // 000000004154: BE8B00FF 00020000
	s_mov_b32 s15, 0x20000                                     // 00000000415C: BE8F00FF 00020000
	s_mov_b32 s19, 0x20000                                     // 000000004164: BE9300FF 00020000
	s_mov_b32 s23, 0x20000                                     // 00000000416C: BE9700FF 00020000
	s_mov_b32 s27, 0x20000                                     // 000000004174: BE9B00FF 00020000
	s_mov_b32 s31, 0x20000                                     // 00000000417C: BE9F00FF 00020000
	s_mov_b32 s35, 0x20000                                     // 000000004184: BEA300FF 00020000
	s_mov_b32 s39, 0x20000                                     // 00000000418C: BEA700FF 00020000
	s_mov_b32 s43, 0x20000                                     // 000000004194: BEAB00FF 00020000
	s_and_b32 s9, s9, 0xffff                                   // 00000000419C: 8609FF09 0000FFFF
	s_and_b32 s13, s13, 0xffff                                 // 0000000041A4: 860DFF0D 0000FFFF
	s_and_b32 s17, s17, 0xffff                                 // 0000000041AC: 8611FF11 0000FFFF
	s_and_b32 s21, s21, 0xffff                                 // 0000000041B4: 8615FF15 0000FFFF
	s_and_b32 s25, s25, 0xffff                                 // 0000000041BC: 8619FF19 0000FFFF
	s_and_b32 s29, s29, 0xffff                                 // 0000000041C4: 861DFF1D 0000FFFF
	s_and_b32 s33, s33, 0xffff                                 // 0000000041CC: 8621FF21 0000FFFF
	s_and_b32 s37, s37, 0xffff                                 // 0000000041D4: 8625FF25 0000FFFF
	s_and_b32 s41, s41, 0xffff                                 // 0000000041DC: 8629FF29 0000FFFF
	s_or_b32 s9, s9, 0x40000                                   // 0000000041E4: 8709FF09 00040000
	s_or_b32 s13, s13, 0x40000                                 // 0000000041EC: 870DFF0D 00040000
	s_or_b32 s17, s17, 0x40000                                 // 0000000041F4: 8711FF11 00040000
	s_or_b32 s21, s21, 0x40000                                 // 0000000041FC: 8715FF15 00040000
	s_or_b32 s25, s25, 0x40000                                 // 000000004204: 8719FF19 00040000
	s_or_b32 s29, s29, 0x40000                                 // 00000000420C: 871DFF1D 00040000
	s_or_b32 s33, s33, 0x40000                                 // 000000004214: 8721FF21 00040000
	s_or_b32 s37, s37, 0x40000                                 // 00000000421C: 8725FF25 00040000
	s_or_b32 s41, s41, 0x40000                                 // 000000004224: 8729FF29 00040000
	v_accvgpr_write_b32 a143, 0                                // 00000000422C: D3D9408F 18000080
	v_mov_b32_e32 v213, 0                                      // 000000004234: 7FAA0280
	s_mov_b32 s71, s3                                          // 000000004238: BEC70003
	v_cvt_f32_u32_e32 v28, s44                                 // 00000000423C: 7E380C2C
	s_sub_i32 s60, 0, s44                                      // 000000004240: 81BC2C80
	v_rcp_iflag_f32_e32 v28, v28                               // 000000004244: 7E38471C
	s_nop 0                                                    // 000000004248: BF800000
	v_mul_f32_e32 v28, 0x4f7ffffe, v28                         // 00000000424C: 0A3838FF 4F7FFFFE
	v_cvt_u32_f32_e32 v28, v28                                 // 000000004254: 7E380F1C
	v_mul_lo_u32 v29, s60, v28                                 // 000000004258: D285001D 0002383C
	v_mul_hi_u32 v29, v28, v29                                 // 000000004260: D286001D 00023B1C
	v_add_u32_e32 v28, v28, v29                                // 000000004268: 68383B1C
	v_mul_hi_u32 v28, s71, v28                                 // 00000000426C: D286001C 00023847
	v_mul_lo_u32 v29, v28, s44                                 // 000000004274: D285001D 0000591C
	v_sub_u32_e32 v31, s71, v29                                // 00000000427C: 6A3E3A47
	v_add_u32_e32 v30, 1, v28                                  // 000000004280: 683C3881
	v_cmp_le_u32_e32 vcc, s44, v31                             // 000000004284: 7D963E2C
	v_subrev_u32_e32 v29, s44, v31                             // 000000004288: 6C3A3E2C
	s_nop 0                                                    // 00000000428C: BF800000
	v_cndmask_b32_e32 v28, v28, v30, vcc                       // 000000004290: 00383D1C
	v_cndmask_b32_e32 v31, v31, v29, vcc                       // 000000004294: 003E3B1F
	v_add_u32_e32 v29, 1, v28                                  // 000000004298: 683A3881
	v_cmp_le_u32_e32 vcc, s44, v31                             // 00000000429C: 7D963E2C
	s_nop 1                                                    // 0000000042A0: BF800001
	v_cndmask_b32_e32 v31, v28, v29, vcc                       // 0000000042A4: 003E3B1C
	s_nop 3                                                    // 0000000042A8: BF800003
	v_readfirstlane_b32 s45, v31                               // 0000000042AC: 7E5A051F
	s_nop 3                                                    // 0000000042B0: BF800003
	s_mul_i32 s61, s45, s80                                    // 0000000042B4: 923D502D
	s_mov_b32 s54, s61                                         // 0000000042B8: BEB6003D
	s_add_u32 s12, s54, s12                                    // 0000000042BC: 800C0C36
	s_addc_u32 s13, 0, s13                                     // 0000000042C0: 820D0D80
	s_mul_i32 s60, s4, s81                                     // 0000000042C4: 923C5104
	s_mul_hi_u32 s61, s4, s81                                  // 0000000042C8: 963D5104
	s_and_b32 s61, s61, 0xffff                                 // 0000000042CC: 863DFF3D 0000FFFF
	s_add_u32 s12, s12, s60                                    // 0000000042D4: 800C3C0C
	s_addc_u32 s13, s13, s61                                   // 0000000042D8: 820D3D0D
	s_mul_i32 s61, s45, s90                                    // 0000000042DC: 923D5A2D
	s_mov_b32 s54, s61                                         // 0000000042E0: BEB6003D
	s_add_u32 s16, s54, s16                                    // 0000000042E4: 80101036
	s_addc_u32 s17, 0, s17                                     // 0000000042E8: 82111180
	s_mul_i32 s60, s4, s91                                     // 0000000042EC: 923C5B04
	s_mul_hi_u32 s61, s4, s91                                  // 0000000042F0: 963D5B04
	s_and_b32 s61, s61, 0xffff                                 // 0000000042F4: 863DFF3D 0000FFFF
	s_add_u32 s16, s16, s60                                    // 0000000042FC: 80103C10
	s_addc_u32 s17, s17, s61                                   // 000000004300: 82113D11
	s_mul_i32 s61, s3, s78                                     // 000000004304: 923D4E03
	s_mov_b32 s55, s61                                         // 000000004308: BEB7003D
	s_add_u32 s8, s55, s8                                      // 00000000430C: 80080837
	s_addc_u32 s9, 0, s9                                       // 000000004310: 82090980
	s_mul_i32 s60, s4, s79                                     // 000000004314: 923C4F04
	s_mul_hi_u32 s61, s4, s79                                  // 000000004318: 963D4F04
	s_and_b32 s61, s61, 0xffff                                 // 00000000431C: 863DFF3D 0000FFFF
	s_add_u32 s8, s8, s60                                      // 000000004324: 80083C08
	s_addc_u32 s9, s9, s61                                     // 000000004328: 82093D09
	s_mul_i32 s61, s3, s92                                     // 00000000432C: 923D5C03
	s_mov_b32 s56, s61                                         // 000000004330: BEB8003D
	s_add_u32 s20, s56, s20                                    // 000000004334: 80141438
	s_addc_u32 s21, 0, s21                                     // 000000004338: 82151580
	s_mul_i32 s60, s4, s93                                     // 00000000433C: 923C5D04
	s_mul_hi_u32 s61, s4, s93                                  // 000000004340: 963D5D04
	s_and_b32 s61, s61, 0xffff                                 // 000000004344: 863DFF3D 0000FFFF
	s_add_u32 s20, s20, s60                                    // 00000000434C: 80143C14
	s_addc_u32 s21, s21, s61                                   // 000000004350: 82153D15
	s_mul_i32 s62, s4, s72                                     // 000000004354: 923E4804
	s_mul_i32 s62, s62, s49                                    // 000000004358: 923E313E
	s_lshl_b32 s62, s62, 2                                     // 00000000435C: 8E3E823E
	s_mul_i32 s61, s3, s49                                     // 000000004360: 923D3103
	s_mul_i32 s61, 4, s61                                      // 000000004364: 923D3D84
	s_add_u32 s65, s61, s62                                    // 000000004368: 80413E3D
	s_mov_b32 s26, s49                                         // 00000000436C: BE9A0031
	s_mov_b32 s30, s49                                         // 000000004370: BE9E0031
	s_add_u32 s24, s65, s24                                    // 000000004374: 80181841
	s_addc_u32 s25, 0, s25                                     // 000000004378: 82191980
	s_add_u32 s28, s65, s28                                    // 00000000437C: 801C1C41
	s_addc_u32 s29, 0, s29                                     // 000000004380: 821D1D80
	s_mul_i32 s61, s3, s94                                     // 000000004384: 923D5E03
	s_mul_i32 s62, s4, s95                                     // 000000004388: 923E5F04
	s_add_u32 s60, s61, s62                                    // 00000000438C: 803C3E3D
	s_mul_hi_u32 s61, s4, s95                                  // 000000004390: 963D5F04
	s_and_b32 s61, s61, 0xffff                                 // 000000004394: 863DFF3D 0000FFFF
	s_add_u32 s36, s60, s36                                    // 00000000439C: 8024243C
	s_addc_u32 s37, s61, s37                                   // 0000000043A0: 8225253D
	s_mul_i32 s60, s50, s52                                    // 0000000043A4: 923C3432
	s_lshr_b32 s60, s60, 2                                     // 0000000043A8: 8F3C823C
	s_mov_b32 s38, s60                                         // 0000000043AC: BEA6003C
	s_mul_i32 s61, s3, s96                                     // 0000000043B0: 923D6003
	s_mul_i32 s62, s4, s97                                     // 0000000043B4: 923E6104
	s_add_u32 s60, s61, s62                                    // 0000000043B8: 803C3E3D
	s_mul_hi_u32 s61, s4, s97                                  // 0000000043BC: 963D6104
	s_and_b32 s61, s61, 0xffff                                 // 0000000043C0: 863DFF3D 0000FFFF
	s_add_u32 s40, s60, s40                                    // 0000000043C8: 8028283C
	s_addc_u32 s41, s61, s41                                   // 0000000043CC: 8229293D
	s_mul_i32 s60, s50, s53                                    // 0000000043D0: 923C3532
	s_lshr_b32 s60, s60, 2                                     // 0000000043D4: 8F3C823C
	s_mov_b32 s42, s60                                         // 0000000043D8: BEAA003C
	s_mul_i32 s60, s98, s65                                    // 0000000043DC: 923C4162
	s_mul_hi_u32 s62, s98, s65                                 // 0000000043E0: 963E4162
	s_and_b32 s62, s62, 0xffff                                 // 0000000043E4: 863EFF3E 0000FFFF
	s_add_u32 s32, s60, s32                                    // 0000000043EC: 8020203C
	s_addc_u32 s33, s62, s33                                   // 0000000043F0: 8221213E
	s_mul_i32 s60, s98, s49                                    // 0000000043F4: 923C3162
	s_lshl_b32 s60, s60, 2                                     // 0000000043F8: 8E3C823C
	s_mov_b32 s34, s60                                         // 0000000043FC: BEA2003C
	s_mov_b32 s82, s8                                          // 000000004400: BED20008
	s_mov_b32 s84, s12                                         // 000000004404: BED4000C
	s_mov_b32 s86, s16                                         // 000000004408: BED60010
	s_mov_b32 s88, s20                                         // 00000000440C: BED80014
	s_mov_b32 s83, s9                                          // 000000004410: BED30009
	s_mov_b32 s85, s13                                         // 000000004414: BED5000D
	s_mov_b32 s87, s17                                         // 000000004418: BED70011
	s_mov_b32 s89, s21                                         // 00000000441C: BED90015
	s_add_u32 s71, 63, s50                                     // 000000004420: 804732BF
	s_mov_b32 s74, 64                                          // 000000004424: BECA00C0
	v_cvt_f32_u32_e32 v28, s74                                 // 000000004428: 7E380C4A
	s_sub_i32 s60, 0, s74                                      // 00000000442C: 81BC4A80
	v_rcp_iflag_f32_e32 v28, v28                               // 000000004430: 7E38471C
	s_nop 0                                                    // 000000004434: BF800000
	v_mul_f32_e32 v28, 0x4f7ffffe, v28                         // 000000004438: 0A3838FF 4F7FFFFE
	v_cvt_u32_f32_e32 v28, v28                                 // 000000004440: 7E380F1C
	v_mul_lo_u32 v29, s60, v28                                 // 000000004444: D285001D 0002383C
	v_mul_hi_u32 v29, v28, v29                                 // 00000000444C: D286001D 00023B1C
	v_add_u32_e32 v28, v28, v29                                // 000000004454: 68383B1C
	v_mul_hi_u32 v28, s71, v28                                 // 000000004458: D286001C 00023847
	v_mul_lo_u32 v29, v28, s74                                 // 000000004460: D285001D 0000951C
	v_sub_u32_e32 v31, s71, v29                                // 000000004468: 6A3E3A47
	v_add_u32_e32 v30, 1, v28                                  // 00000000446C: 683C3881
	v_cmp_le_u32_e32 vcc, s74, v31                             // 000000004470: 7D963E4A
	v_subrev_u32_e32 v29, s74, v31                             // 000000004474: 6C3A3E4A
	s_nop 0                                                    // 000000004478: BF800000
	v_cndmask_b32_e32 v28, v28, v30, vcc                       // 00000000447C: 00383D1C
	v_cndmask_b32_e32 v31, v31, v29, vcc                       // 000000004480: 003E3B1F
	v_add_u32_e32 v29, 1, v28                                  // 000000004484: 683A3881
	v_cmp_le_u32_e32 vcc, s74, v31                             // 000000004488: 7D963E4A
	s_nop 1                                                    // 00000000448C: BF800001
	v_cndmask_b32_e32 v31, v28, v29, vcc                       // 000000004490: 003E3B1C
	s_nop 3                                                    // 000000004494: BF800003
	v_readfirstlane_b32 s77, v31                               // 000000004498: 7E9A051F
	s_nop 3                                                    // 00000000449C: BF800003
	v_mov_b32_e32 v28, s47                                     // 0000000044A0: 7E38022F
	v_mul_f32_e32 v28, s48, v28                                // 0000000044A4: 0A383830
	s_mov_b32 s58, s49                                         // 0000000044A8: BEBA0031
	s_mov_b32 s59, 0                                           // 0000000044AC: BEBB0080
	s_mov_b32 s63, 0x5040100                                   // 0000000044B0: BEBF00FF 05040100
	s_mov_b32 s64, 0x7060302                                   // 0000000044B8: BEC000FF 07060302
	v_readfirstlane_b32 s57, v28                               // 0000000044C0: 7E72051C
	v_mov_b32_e32 v30, 0x3020706                               // 0000000044C4: 7E3C02FF 03020706
	v_mov_b32_e32 v28, s63                                     // 0000000044CC: 7E38023F
	v_and_b32_e32 v29, 1, v0                                   // 0000000044D0: 263A0081
	v_cmp_eq_u32_e32 vcc, 1, v29                               // 0000000044D4: 7D943A81
	s_mul_i32 s60, s98, 64                                     // 0000000044D8: 923CC062
	s_mov_b32 s67, s60                                         // 0000000044DC: BEC3003C
	v_cndmask_b32_e32 v15, v28, v30, vcc                       // 0000000044E0: 001E3D1C
	v_mov_b32_e32 v209, 0xffff0000                             // 0000000044E4: 7FA202FF FFFF0000
	v_mov_b32_e32 v210, 0x7fff0000                             // 0000000044EC: 7FA402FF 7FFF0000
	v_mov_b32_e32 v211, 0x7fff                                 // 0000000044F4: 7FA602FF 00007FFF
	s_cmp_lt_u32 s46, 2                                        // 0000000044FC: BF0A822E
	s_cselect_b32 s24, s24, s28                                // 000000004500: 85181C18
	s_cselect_b32 s25, s25, s29                                // 000000004504: 85191D19
	s_cselect_b32 s26, s26, s30                                // 000000004508: 851A1E1A
	s_cselect_b32 s27, s27, s31                                // 00000000450C: 851B1F1B
	s_lshr_b32 s60, s46, 1                                     // 000000004510: 8F3C812E
	s_lshl_b32 s60, s60, 8                                     // 000000004514: 8E3C883C
	s_add_u32 s80, 0x9f00, s60                                 // 000000004518: 80503CFF 00009F00
	s_add_u32 s81, 0x200, s80                                  // 000000004520: 805150FF 00000200
	s_mov_b32 s75, 0                                           // 000000004528: BECB0080
	s_mov_b32 s76, 1                                           // 00000000452C: BECC0081
	s_lshl_b32 s60, s2, 1                                      // 000000004530: 8E3C8102
	s_add_u32 s60, 1, s60                                      // 000000004534: 803C3C81
	s_cmp_ge_i32 s60, s77                                      // 000000004538: BF034D3C
	s_cselect_b32 s76, s76, 2                                  // 00000000453C: 854C824C
	v_lshrrev_b32_e32 v28, 2, v0                               // 000000004540: 20380082
	v_and_b32_e32 v29, 3, v28                                  // 000000004544: 263A3883
	v_lshrrev_b32_e32 v30, 3, v28                              // 000000004548: 203C3883
	v_lshlrev_b32_e32 v30, 2, v30                              // 00000000454C: 243C3C82
	v_add_u32_e32 v28, v30, v29                                // 000000004550: 68383B1E
	v_mov_b32_e32 v30, s98                                     // 000000004554: 7E3C0262
	v_mov_b32_e32 v29, 0x80                                    // 000000004558: 7E3A02FF 00000080
	v_sub_u32_e32 v30, v30, v29                                // 000000004560: 6A3C3B1E
	v_lshrrev_b32_e32 v30, 3, v30                              // 000000004564: 203C3C83
	v_cmp_lt_u32_e64 s[90:91], v28, v30                        // 000000004568: D0C9005A 00023D1C
	v_and_b32_e32 v28, 31, v0                                  // 000000004570: 2638009F
	v_lshrrev_b32_e32 v28, 3, v28                              // 000000004574: 20383883
	v_mov_b32_e32 v29, s98                                     // 000000004578: 7E3A0262
	v_mov_b32_e32 v30, 0x80                                    // 00000000457C: 7E3C02FF 00000080
	v_sub_u32_e32 v29, v29, v30                                // 000000004584: 6A3A3D1D
	v_lshrrev_b32_e32 v29, 3, v29                              // 000000004588: 203A3A83
	v_cmp_lt_u32_e64 s[94:95], v28, v29                        // 00000000458C: D0C9005E 00023B1C
	v_add_u32_e32 v28, 4, v28                                  // 000000004594: 68383884
	v_cmp_lt_u32_e64 s[96:97], v28, v29                        // 000000004598: D0C90060 00023B1C

00000000000045a0 <label_0168>:
	s_mov_b32 m0, s80                                          // 0000000045A0: BEFC0050
	s_mov_b32 s66, 0                                           // 0000000045A4: BEC20080
	v_mov_b32_e32 v159, 0xff800000                             // 0000000045A8: 7F3E02FF FF800000
	s_mov_b32 s74, 0                                           // 0000000045B0: BECA0080
	s_mul_i32 s68, 4, s5                                       // 0000000045B4: 92440584
	s_mul_i32 s99, 4, s51                                      // 0000000045B8: 92633384
	s_mov_b32 s69, 16                                          // 0000000045BC: BEC50090
	s_mul_i32 s59, 64, s2                                      // 0000000045C0: 923B02C0
	s_mul_i32 s54, s6, s59                                     // 0000000045C4: 92363B06
	s_sub_i32 s61, s50, s59                                    // 0000000045C8: 81BD3B32
	s_mul_i32 s62, s6, s61                                     // 0000000045CC: 923E3D06
	s_lshr_b32 s62, s62, 2                                     // 0000000045D0: 8F3E823E
	s_mov_b32 s14, s62                                         // 0000000045D4: BE8E003E
	s_add_u32 s12, s54, s84                                    // 0000000045D8: 800C5436
	s_addc_u32 s13, 0, s85                                     // 0000000045DC: 820D5580
	s_mul_i32 s54, s7, s59                                     // 0000000045E0: 92363B07
	s_mul_i32 s62, s7, s61                                     // 0000000045E4: 923E3D07
	s_lshr_b32 s62, s62, 2                                     // 0000000045E8: 8F3E823E
	s_mov_b32 s18, s62                                         // 0000000045EC: BE92003E
	s_add_u32 s16, s54, s86                                    // 0000000045F0: 80105636
	s_addc_u32 s17, 0, s87                                     // 0000000045F4: 82115780
	s_mov_b32 s71, s6                                          // 0000000045F8: BEC70006
	v_lshrrev_b32_e32 v28, 4, v0                               // 0000000045FC: 20380084
	v_and_b32_e32 v29, 1, v28                                  // 000000004600: 263A3881
	v_lshlrev_b32_e32 v29, 1, v29                              // 000000004604: 243A3A81
	v_mul_i32_i24_e32 v29, s71, v29                            // 000000004608: 0C3A3A47
	v_and_b32_e32 v30, 2, v28                                  // 00000000460C: 263C3882
	v_lshlrev_b32_e32 v30, 5, v30                              // 000000004610: 243C3C85
	v_add_u32_e32 v29, v30, v29                                // 000000004614: 683A3B1E
	v_and_b32_e32 v28, 15, v0                                  // 000000004618: 2638008F
	v_lshlrev_b32_e32 v28, 2, v28                              // 00000000461C: 24383882
	v_add_u32_e32 v1, v28, v29                                 // 000000004620: 68023B1C
	s_mul_i32 s60, s46, s71                                    // 000000004624: 923C472E
	s_mul_i32 s60, s60, 4                                      // 000000004628: 923C843C
	v_add_u32_e32 v1, s60, v1                                  // 00000000462C: 6802023C
	v_add_u32_e32 v2, s71, v1                                  // 000000004630: 68040247
	s_mov_b32 s71, s7                                          // 000000004634: BEC70007
	v_lshrrev_b32_e32 v28, 4, v0                               // 000000004638: 20380084
	v_and_b32_e32 v29, 1, v28                                  // 00000000463C: 263A3881
	v_lshlrev_b32_e32 v29, 1, v29                              // 000000004640: 243A3A81
	v_mul_i32_i24_e32 v29, s71, v29                            // 000000004644: 0C3A3A47
	v_and_b32_e32 v30, 2, v28                                  // 000000004648: 263C3882
	v_lshlrev_b32_e32 v30, 5, v30                              // 00000000464C: 243C3C85
	v_add_u32_e32 v29, v30, v29                                // 000000004650: 683A3B1E
	v_and_b32_e32 v28, 15, v0                                  // 000000004654: 2638008F
	v_lshlrev_b32_e32 v28, 2, v28                              // 000000004658: 24383882
	v_add_u32_e32 v212, v28, v29                               // 00000000465C: 69A83B1C
	s_mul_i32 s60, s46, s71                                    // 000000004660: 923C472E
	s_mul_i32 s60, s60, 4                                      // 000000004664: 923C843C
	v_add_u32_e32 v212, s60, v212                              // 000000004668: 69A9A83C
	v_add_u32_e32 v213, s71, v212                              // 00000000466C: 69ABA847
	v_lshrrev_b32_e32 v1, 2, v1                                // 000000004670: 20020282
	v_lshrrev_b32_e32 v2, 2, v2                                // 000000004674: 20040482
	v_lshrrev_b32_e32 v212, 2, v212                            // 000000004678: 21A9A882
	v_lshrrev_b32_e32 v213, 2, v213                            // 00000000467C: 21ABAA82
	s_mov_b32 s70, s52                                         // 000000004680: BEC60034
	v_lshrrev_b32_e32 v28, 3, v0                               // 000000004684: 20380083
	v_mul_i32_i24_e32 v3, s70, v28                             // 000000004688: 0C063846
	v_lshrrev_b32_e32 v3, 2, v3                                // 00000000468C: 20060682
	v_and_b32_e32 v28, 7, v0                                   // 000000004690: 26380087
	v_lshlrev_b32_e32 v29, 2, v28                              // 000000004694: 243A3882
	v_add_u32_e32 v3, v29, v3                                  // 000000004698: 6806071D
	s_mul_i32 s60, 16, s70                                     // 00000000469C: 923C4690
	s_mul_i32 s60, s46, s60                                    // 0000000046A0: 923C3C2E
	v_lshlrev_b32_e32 v3, 2, v3                                // 0000000046A4: 24060682
	v_add_u32_e32 v3, s60, v3                                  // 0000000046A8: 6806063C
	s_mul_i32 s60, 8, s70                                      // 0000000046AC: 923C4688
	v_add_u32_e32 v4, s60, v3                                  // 0000000046B0: 6808063C
	s_mul_i32 s60, s52, s59                                    // 0000000046B4: 923C3B34
	v_add_u32_e32 v3, s60, v3                                  // 0000000046B8: 6806063C
	v_lshrrev_b32_e32 v3, 2, v3                                // 0000000046BC: 20060682
	v_add_u32_e32 v4, s60, v4                                  // 0000000046C0: 6808083C
	v_lshrrev_b32_e32 v4, 2, v4                                // 0000000046C4: 20080882
	s_mov_b32 s70, s53                                         // 0000000046C8: BEC60035
	v_lshrrev_b32_e32 v28, 3, v0                               // 0000000046CC: 20380083
	v_mul_i32_i24_e32 v5, s70, v28                             // 0000000046D0: 0C0A3846
	v_lshrrev_b32_e32 v5, 2, v5                                // 0000000046D4: 200A0A82
	v_and_b32_e32 v28, 7, v0                                   // 0000000046D8: 26380087
	v_lshlrev_b32_e32 v29, 2, v28                              // 0000000046DC: 243A3882
	v_add_u32_e32 v5, v29, v5                                  // 0000000046E0: 680A0B1D
	s_mul_i32 s60, 16, s70                                     // 0000000046E4: 923C4690
	s_mul_i32 s60, s46, s60                                    // 0000000046E8: 923C3C2E
	v_lshlrev_b32_e32 v5, 2, v5                                // 0000000046EC: 240A0A82
	v_add_u32_e32 v5, s60, v5                                  // 0000000046F0: 680A0A3C
	s_mul_i32 s60, 8, s70                                      // 0000000046F4: 923C4688
	v_add_u32_e32 v6, s60, v5                                  // 0000000046F8: 680C0A3C
	s_mul_i32 s60, s53, s59                                    // 0000000046FC: 923C3B35
	v_add_u32_e32 v5, s60, v5                                  // 000000004700: 680A0A3C
	v_lshrrev_b32_e32 v5, 2, v5                                // 000000004704: 200A0A82
	v_add_u32_e32 v6, s60, v6                                  // 000000004708: 680C0C3C
	v_lshrrev_b32_e32 v6, 2, v6                                // 00000000470C: 200C0C82
	s_cmp_ge_i32 s59, s49                                      // 000000004710: BF03313B
	s_cselect_b32 s59, s49, s59                                // 000000004714: 853B3B31
	s_add_u32 s73, 16, s59                                     // 000000004718: 80493B90
	s_mul_i32 s55, s5, s59                                     // 00000000471C: 92373B05
	s_sub_i32 s61, s49, s59                                    // 000000004720: 81BD3B31
	s_mul_i32 s62, s5, s61                                     // 000000004724: 923E3D05
	s_lshr_b32 s62, s62, 2                                     // 000000004728: 8F3E823E
	s_mov_b32 s10, s62                                         // 00000000472C: BE8A003E
	s_add_u32 s8, s55, s82                                     // 000000004730: 80085237
	s_addc_u32 s9, 0, s83                                      // 000000004734: 82095380
	s_mul_i32 s56, s51, s59                                    // 000000004738: 92383B33
	s_mul_i32 s62, s51, s61                                    // 00000000473C: 923E3D33
	s_lshr_b32 s62, s62, 2                                     // 000000004740: 8F3E823E
	s_mov_b32 s22, s62                                         // 000000004744: BE96003E
	s_add_u32 s20, s56, s88                                    // 000000004748: 80145838
	s_addc_u32 s21, 0, s89                                     // 00000000474C: 82155980
	s_mul_i32 s65, s59, 4                                      // 000000004750: 9241843B
	v_and_b32_e32 v9, 15, v0                                   // 000000004754: 2612008F
	v_lshlrev_b32_e32 v9, 2, v9                                // 000000004758: 24121282
	v_add_u32_e32 v9, s65, v9                                  // 00000000475C: 68121241
	v_lshrrev_b32_e32 v9, 2, v9                                // 000000004760: 20121282
	v_lshrrev_b32_e32 v28, 5, v0                               // 000000004764: 20380085
	v_mul_i32_i24_e64 v29, s98, 2                              // 000000004768: D106001D 00010462
	v_mul_i32_i24_e32 v7, v29, v28                             // 000000004770: 0C0E391D
	v_and_b32_e32 v28, 31, v0                                  // 000000004774: 2638009F
	v_add_u32_e32 v7, v28, v7                                  // 000000004778: 680E0F1C
	s_mul_i32 s60, 4, s98                                      // 00000000477C: 923C6284
	s_mul_i32 s60, s46, s60                                    // 000000004780: 923C3C2E
	v_add_u32_e32 v7, s60, v7                                  // 000000004784: 680E0E3C
	v_lshlrev_b32_e32 v7, 2, v7                                // 000000004788: 240E0E82
	v_mul_i32_i24_e32 v29, 2, v29                              // 00000000478C: 0C3A3A82
	v_add_u32_e32 v8, v29, v7                                  // 000000004790: 68100F1D
	s_mul_i32 s60, s98, s65                                    // 000000004794: 923C4162
	v_add_u32_e32 v7, s60, v7                                  // 000000004798: 680E0E3C
	v_add_u32_e32 v8, s60, v8                                  // 00000000479C: 6810103C
	s_mul_i32 s60, 64, s2                                      // 0000000047A0: 923C02C0
	s_sub_i32 s100, s50, s60                                   // 0000000047A4: 81E43C32
	v_and_b32_e32 v28, 31, v0                                  // 0000000047A8: 2638009F
	v_lshrrev_b32_e32 v28, 1, v28                              // 0000000047AC: 20383881
	v_and_b32_e32 v29, 1, v28                                  // 0000000047B0: 263A3881
	v_lshlrev_b32_e32 v29, 4, v29                              // 0000000047B4: 243A3A84
	v_and_b32_e32 v30, 2, v28                                  // 0000000047B8: 263C3882
	v_lshlrev_b32_e32 v30, 2, v30                              // 0000000047BC: 243C3C82
	v_add_u32_e32 v29, v30, v29                                // 0000000047C0: 683A3B1E
	v_and_b32_e32 v30, 12, v28                                 // 0000000047C4: 263C388C
	v_lshrrev_b32_e32 v30, 1, v30                              // 0000000047C8: 203C3C81
	v_add_u32_e32 v29, v30, v29                                // 0000000047CC: 683A3B1E
	v_lshrrev_b32_e32 v28, 5, v0                               // 0000000047D0: 20380085
	v_mul_i32_i24_e32 v30, 0x80, v28                           // 0000000047D4: 0C3C38FF 00000080
	v_add_u32_e32 v29, v30, v29                                // 0000000047DC: 683A3B1E
	v_and_b32_e32 v30, 1, v0                                   // 0000000047E0: 263C0081
	v_add_u32_e32 v11, v30, v29                                // 0000000047E4: 68163B1E
	s_mul_i32 s60, s46, 32                                     // 0000000047E8: 923CA02E
	v_add_u32_e32 v11, s60, v11                                // 0000000047EC: 6816163C
	v_lshlrev_b32_e32 v11, 2, v11                              // 0000000047F0: 24161682
	v_lshrrev_b32_e32 v28, 4, v0                               // 0000000047F4: 20380084
	v_and_b32_e32 v29, 1, v28                                  // 0000000047F8: 263A3881
	v_lshlrev_b32_e32 v29, 4, v29                              // 0000000047FC: 243A3A84
	v_and_b32_e32 v30, 2, v28                                  // 000000004800: 263C3882
	v_mul_i32_i24_e32 v30, 4, v30                              // 000000004804: 0C3C3C84
	v_add_u32_e32 v29, v30, v29                                // 000000004808: 683A3B1E
	v_and_b32_e32 v28, 15, v0                                  // 00000000480C: 2638008F
	v_lshrrev_b32_e32 v30, 2, v28                              // 000000004810: 203C3882
	v_lshlrev_b32_e32 v30, 5, v30                              // 000000004814: 243C3C85
	v_add_u32_e32 v29, v30, v29                                // 000000004818: 683A3B1E
	v_and_b32_e32 v28, 3, v0                                   // 00000000481C: 26380083
	v_and_b32_e32 v30, 1, v28                                  // 000000004820: 263C3881
	v_mul_i32_i24_e32 v30, 0x108, v30                          // 000000004824: 0C3C3CFF 00000108
	v_add_u32_e32 v29, v30, v29                                // 00000000482C: 683A3B1E
	v_and_b32_e32 v30, 2, v28                                  // 000000004830: 263C3882
	v_lshlrev_b32_e32 v30, 1, v30                              // 000000004834: 243C3C81
	v_add_u32_e32 v10, v30, v29                                // 000000004838: 68143B1E
	v_lshlrev_b32_e32 v10, 2, v10                              // 00000000483C: 24141482
	s_mul_i32 s60, s46, 0x1980                                 // 000000004840: 923CFF2E 00001980
	v_add_u32_e32 v22, s60, v10                                // 000000004848: 682C143C
	v_lshrrev_b32_e32 v28, 5, v0                               // 00000000484C: 20380085
	v_mul_i32_i24_e32 v13, 0x80, v28                           // 000000004850: 0C1A38FF 00000080
	v_and_b32_e32 v28, 31, v0                                  // 000000004858: 2638009F
	v_and_b32_e32 v29, 7, v28                                  // 00000000485C: 263A3887
	v_and_b32_e32 v30, 1, v29                                  // 000000004860: 263C3A81
	v_lshlrev_b32_e32 v30, 2, v30                              // 000000004864: 243C3C82
	v_add_u32_e32 v13, v30, v13                                // 000000004868: 681A1B1E
	v_and_b32_e32 v30, 2, v29                                  // 00000000486C: 263C3A82
	v_lshlrev_b32_e32 v30, 3, v30                              // 000000004870: 243C3C83
	v_add_u32_e32 v13, v30, v13                                // 000000004874: 681A1B1E
	v_and_b32_e32 v30, 4, v29                                  // 000000004878: 263C3A84
	v_lshlrev_b32_e32 v30, 1, v30                              // 00000000487C: 243C3C81
	v_add_u32_e32 v13, v30, v13                                // 000000004880: 681A1B1E
	v_lshrrev_b32_e32 v29, 3, v28                              // 000000004884: 203A3883
	v_and_b32_e32 v30, 1, v29                                  // 000000004888: 263C3A81
	v_lshlrev_b32_e32 v30, 1, v30                              // 00000000488C: 243C3C81
	v_add_u32_e32 v13, v30, v13                                // 000000004890: 681A1B1E
	v_and_b32_e32 v30, 2, v29                                  // 000000004894: 263C3A82
	v_lshrrev_b32_e32 v30, 1, v30                              // 000000004898: 203C3C81
	v_add_u32_e32 v13, v30, v13                                // 00000000489C: 681A1B1E
	s_mul_i32 s60, s46, 32                                     // 0000000048A0: 923CA02E
	v_add_u32_e32 v13, s60, v13                                // 0000000048A4: 681A1A3C
	v_lshlrev_b32_e32 v13, 2, v13                              // 0000000048A8: 241A1A82
	v_and_b32_e32 v28, 15, v0                                  // 0000000048AC: 2638008F
	v_and_b32_e32 v30, 1, v28                                  // 0000000048B0: 263C3881
	v_mul_i32_i24_e32 v12, 0x108, v30                          // 0000000048B4: 0C183CFF 00000108
	v_and_b32_e32 v30, 2, v28                                  // 0000000048BC: 263C3882
	v_lshlrev_b32_e32 v30, 1, v30                              // 0000000048C0: 243C3C81
	v_add_u32_e32 v12, v30, v12                                // 0000000048C4: 6818191E
	v_and_b32_e32 v30, 4, v28                                  // 0000000048C8: 263C3884
	v_lshlrev_b32_e32 v30, 2, v30                              // 0000000048CC: 243C3C82
	v_add_u32_e32 v12, v30, v12                                // 0000000048D0: 6818191E
	v_and_b32_e32 v30, 8, v28                                  // 0000000048D4: 263C3888
	v_add_u32_e32 v12, v30, v12                                // 0000000048D8: 6818191E
	v_lshrrev_b32_e32 v28, 4, v0                               // 0000000048DC: 20380084
	v_and_b32_e32 v30, 1, v28                                  // 0000000048E0: 263C3881
	v_lshlrev_b32_e32 v30, 5, v30                              // 0000000048E4: 243C3C85
	v_add_u32_e32 v12, v30, v12                                // 0000000048E8: 6818191E
	v_and_b32_e32 v29, 2, v28                                  // 0000000048EC: 263A3882
	v_mul_i32_i24_e32 v30, 32, v29                             // 0000000048F0: 0C3C3AA0
	v_add_u32_e32 v12, v30, v12                                // 0000000048F4: 6818191E
	v_lshlrev_b32_e32 v12, 2, v12                              // 0000000048F8: 24181882
	v_lshrrev_b32_e32 v28, 4, v0                               // 0000000048FC: 20380084
	v_mul_i32_i24_e32 v21, 4, v28                              // 000000004900: 0C2A3884
	v_and_b32_e32 v29, 3, v0                                   // 000000004904: 263A0083
	v_add_u32_e32 v21, v29, v21                                // 000000004908: 682A2B1D
	v_lshlrev_b32_e32 v21, 2, v21                              // 00000000490C: 242A2A82
	v_lshrrev_b32_e32 v28, 5, v0                               // 000000004910: 20380085
	v_mul_i32_i24_e32 v26, 0x104, v28                          // 000000004914: 0C3438FF 00000104
	v_and_b32_e32 v28, 31, v0                                  // 00000000491C: 2638009F
	v_and_b32_e32 v29, 7, v28                                  // 000000004920: 263A3887
	v_lshlrev_b32_e32 v30, 2, v29                              // 000000004924: 243C3A82
	v_add_u32_e32 v26, v30, v26                                // 000000004928: 6834351E
	v_lshrrev_b32_e32 v29, 3, v28                              // 00000000492C: 203A3883
	v_and_b32_e32 v30, 1, v29                                  // 000000004930: 263C3A81
	v_mul_i32_i24_e32 v30, 0x82, v30                           // 000000004934: 0C3C3CFF 00000082
	v_add_u32_e32 v26, v30, v26                                // 00000000493C: 6834351E
	v_and_b32_e32 v30, 2, v29                                  // 000000004940: 263C3A82
	v_lshrrev_b32_e32 v30, 1, v30                              // 000000004944: 203C3C81
	v_add_u32_e32 v26, v30, v26                                // 000000004948: 6834351E
	s_mul_i32 s60, s46, 32                                     // 00000000494C: 923CA02E
	v_add_u32_e32 v26, s60, v26                                // 000000004950: 6834343C
	v_lshlrev_b32_e32 v26, 2, v26                              // 000000004954: 24343482
	v_lshrrev_b32_e32 v28, 5, v0                               // 000000004958: 20380085
	v_mul_i32_i24_e32 v23, 0x618, v28                          // 00000000495C: 0C2E38FF 00000618
	v_and_b32_e32 v28, 31, v0                                  // 000000004964: 2638009F
	v_lshlrev_b32_e32 v28, 1, v28                              // 000000004968: 24383881
	v_add_u32_e32 v23, v28, v23                                // 00000000496C: 682E2F1C
	s_mul_i32 s60, s46, 0x186                                  // 000000004970: 923CFF2E 00000186
	v_add_u32_e32 v23, s60, v23                                // 000000004978: 682E2E3C
	v_lshlrev_b32_e32 v23, 2, v23                              // 00000000497C: 242E2E82
	v_lshrrev_b32_e32 v28, 4, v0                               // 000000004980: 20380084
	v_and_b32_e32 v29, 1, v28                                  // 000000004984: 263A3881
	v_mul_i32_i24_e32 v19, 0x100, v29                          // 000000004988: 0C263AFF 00000100
	v_and_b32_e32 v29, 2, v28                                  // 000000004990: 263A3882
	v_mul_i32_i24_e32 v29, 64, v29                             // 000000004994: 0C3A3AC0
	v_add_u32_e32 v19, v29, v19                                // 000000004998: 6826271D
	v_and_b32_e32 v28, 15, v0                                  // 00000000499C: 2638008F
	v_mul_i32_i24_e32 v29, 2, v28                              // 0000000049A0: 0C3A3882
	v_add_u32_e32 v19, v29, v19                                // 0000000049A4: 6826271D
	s_mul_i32 s60, s46, 32                                     // 0000000049A8: 923CA02E
	v_add_u32_e32 v19, s60, v19                                // 0000000049AC: 6826263C
	v_lshlrev_b32_e32 v19, 2, v19                              // 0000000049B0: 24262682
	v_lshlrev_b32_e32 v20, 1, v0                               // 0000000049B4: 24280081
	s_mul_i32 s60, s46, 0x300                                  // 0000000049B8: 923CFF2E 00000300
	v_add_u32_e32 v20, s60, v20                                // 0000000049C0: 6828283C
	v_lshlrev_b32_e32 v20, 2, v20                              // 0000000049C4: 24282882
	v_lshrrev_b32_e32 v28, 5, v0                               // 0000000049C8: 20380085
	v_mul_i32_i24_e32 v17, 64, v28                             // 0000000049CC: 0C2238C0
	v_and_b32_e32 v28, 31, v0                                  // 0000000049D0: 2638009F
	v_and_b32_e32 v28, 3, v28                                  // 0000000049D4: 26383883
	v_and_b32_e32 v29, 1, v28                                  // 0000000049D8: 263A3881
	v_mul_i32_i24_e32 v29, 4, v29                              // 0000000049DC: 0C3A3A84
	v_add_u32_e32 v17, v29, v17                                // 0000000049E0: 6822231D
	v_and_b32_e32 v29, 2, v28                                  // 0000000049E4: 263A3882
	v_mul_i32_i24_e32 v29, 0x44, v29                           // 0000000049E8: 0C3A3AFF 00000044
	v_add_u32_e32 v17, v29, v17                                // 0000000049F0: 6822231D
	v_and_b32_e32 v28, 31, v0                                  // 0000000049F4: 2638009F
	v_lshrrev_b32_e32 v28, 2, v28                              // 0000000049F8: 20383882
	v_lshrrev_b32_e32 v30, 2, v28                              // 0000000049FC: 203C3882
	v_mul_i32_i24_e32 v29, 16, v30                             // 000000004A00: 0C3A3C90
	v_add_u32_e32 v17, v29, v17                                // 000000004A04: 6822231D
	v_and_b32_e32 v29, 2, v28                                  // 000000004A08: 263A3882
	v_lshlrev_b32_e32 v29, 4, v29                              // 000000004A0C: 243A3A84
	v_add_u32_e32 v17, v29, v17                                // 000000004A10: 6822231D
	v_and_b32_e32 v29, 1, v28                                  // 000000004A14: 263A3881
	v_xor_b32_e32 v29, v30, v29                                // 000000004A18: 2A3A3B1E
	v_mul_i32_i24_e32 v29, 8, v29                              // 000000004A1C: 0C3A3A88
	v_add_u32_e32 v17, v29, v17                                // 000000004A20: 6822231D
	v_lshlrev_b32_e32 v17, 2, v17                              // 000000004A24: 24222282
	v_lshrrev_b32_e32 v28, 5, v0                               // 000000004A28: 20380085
	v_mul_i32_i24_e32 v18, 32, v28                             // 000000004A2C: 0C2438A0
	v_and_b32_e32 v28, 31, v0                                  // 000000004A30: 2638009F
	v_and_b32_e32 v28, 3, v28                                  // 000000004A34: 26383883
	v_and_b32_e32 v29, 1, v28                                  // 000000004A38: 263A3881
	v_mul_i32_i24_e32 v29, 4, v29                              // 000000004A3C: 0C3A3A84
	v_add_u32_e32 v18, v29, v18                                // 000000004A40: 6824251D
	v_and_b32_e32 v29, 2, v28                                  // 000000004A44: 263A3882
	v_lshrrev_b32_e32 v29, 1, v29                              // 000000004A48: 203A3A81
	v_add_u32_e32 v18, v29, v18                                // 000000004A4C: 6824251D
	v_and_b32_e32 v28, 31, v0                                  // 000000004A50: 2638009F
	v_lshrrev_b32_e32 v28, 2, v28                              // 000000004A54: 20383882
	v_and_b32_e32 v30, 1, v28                                  // 000000004A58: 263C3881
	v_mul_i32_i24_e32 v29, 16, v30                             // 000000004A5C: 0C3A3C90
	v_add_u32_e32 v18, v29, v18                                // 000000004A60: 6824251D
	v_and_b32_e32 v29, 2, v28                                  // 000000004A64: 263A3882
	v_add_u32_e32 v18, v29, v18                                // 000000004A68: 6824251D
	v_lshrrev_b32_e32 v29, 2, v28                              // 000000004A6C: 203A3882
	v_xor_b32_e32 v29, v30, v29                                // 000000004A70: 2A3A3B1E
	v_mul_i32_i24_e32 v29, 8, v29                              // 000000004A74: 0C3A3A88
	v_add_u32_e32 v18, v29, v18                                // 000000004A78: 6824251D
	s_and_b32 s60, 1, s46                                      // 000000004A7C: 863C2E81
	s_mul_i32 s60, s60, 64                                     // 000000004A80: 923CC03C
	s_lshr_b32 s61, s46, 1                                     // 000000004A84: 8F3D812E
	s_mul_i32 s61, s61, 0x120                                  // 000000004A88: 923DFF3D 00000120
	s_add_u32 s60, s60, s61                                    // 000000004A90: 803C3D3C
	v_add_u32_e32 v18, s60, v18                                // 000000004A94: 6824243C
	v_lshlrev_b32_e32 v18, 2, v18                              // 000000004A98: 24242482
	buffer_load_dword v160, v1, s[12:15], 0 idxen              // 000000004A9C: E0502000 8003A001
	buffer_load_dword v161, v2, s[12:15], 0 idxen              // 000000004AA4: E0502000 8003A102
	buffer_load_dword v162, v1, s[12:15], 0 idxen offset:128   // 000000004AAC: E0502080 8003A201
	buffer_load_dword v163, v2, s[12:15], 0 idxen offset:128   // 000000004AB4: E0502080 8003A302
	v_mov_b32_e32 v164, 0                                      // 000000004ABC: 7F480280
	s_mov_b64 exec, s[90:91]                                   // 000000004AC0: BEFE015A
	buffer_load_dword v164, v1, s[12:15], 0 idxen offset:256   // 000000004AC4: E0502100 8003A401
	s_mov_b32 exec_lo, -1                                      // 000000004ACC: BEFE00C1
	s_mov_b32 exec_hi, -1                                      // 000000004AD0: BEFF00C1
	v_mov_b32_e32 v165, 0                                      // 000000004AD4: 7F4A0280
	s_mov_b64 exec, s[90:91]                                   // 000000004AD8: BEFE015A
	buffer_load_dword v165, v2, s[12:15], 0 idxen offset:256   // 000000004ADC: E0502100 8003A502
	s_mov_b32 exec_lo, -1                                      // 000000004AE4: BEFE00C1
	s_mov_b32 exec_hi, -1                                      // 000000004AE8: BEFF00C1
	s_mul_i32 s60, 4, s6                                       // 000000004AEC: 923C0684
	v_add_u32_e32 v1, s60, v1                                  // 000000004AF0: 6802023C
	v_add_u32_e32 v2, s60, v2                                  // 000000004AF4: 6804043C
	buffer_load_dword v166, v1, s[12:15], 0 idxen              // 000000004AF8: E0502000 8003A601
	buffer_load_dword v167, v2, s[12:15], 0 idxen              // 000000004B00: E0502000 8003A702
	buffer_load_dword v168, v1, s[12:15], 0 idxen offset:128   // 000000004B08: E0502080 8003A801
	buffer_load_dword v169, v2, s[12:15], 0 idxen offset:128   // 000000004B10: E0502080 8003A902
	v_mov_b32_e32 v170, 0                                      // 000000004B18: 7F540280
	s_mov_b64 exec, s[90:91]                                   // 000000004B1C: BEFE015A
	buffer_load_dword v170, v1, s[12:15], 0 idxen offset:256   // 000000004B20: E0502100 8003AA01
	s_mov_b32 exec_lo, -1                                      // 000000004B28: BEFE00C1
	s_mov_b32 exec_hi, -1                                      // 000000004B2C: BEFF00C1
	v_mov_b32_e32 v171, 0                                      // 000000004B30: 7F560280
	s_mov_b64 exec, s[90:91]                                   // 000000004B34: BEFE015A
	buffer_load_dword v171, v2, s[12:15], 0 idxen offset:256   // 000000004B38: E0502100 8003AB02
	s_mov_b32 exec_lo, -1                                      // 000000004B40: BEFE00C1
	s_mov_b32 exec_hi, -1                                      // 000000004B44: BEFF00C1
	s_mul_i32 s60, 4, s6                                       // 000000004B48: 923C0684
	v_add_u32_e32 v1, s60, v1                                  // 000000004B4C: 6802023C
	v_add_u32_e32 v2, s60, v2                                  // 000000004B50: 6804043C
	buffer_load_dword v172, v1, s[12:15], 0 idxen              // 000000004B54: E0502000 8003AC01
	buffer_load_dword v173, v2, s[12:15], 0 idxen              // 000000004B5C: E0502000 8003AD02
	buffer_load_dword v174, v1, s[12:15], 0 idxen offset:128   // 000000004B64: E0502080 8003AE01
	buffer_load_dword v175, v2, s[12:15], 0 idxen offset:128   // 000000004B6C: E0502080 8003AF02
	v_mov_b32_e32 v176, 0                                      // 000000004B74: 7F600280
	s_mov_b64 exec, s[90:91]                                   // 000000004B78: BEFE015A
	buffer_load_dword v176, v1, s[12:15], 0 idxen offset:256   // 000000004B7C: E0502100 8003B001
	s_mov_b32 exec_lo, -1                                      // 000000004B84: BEFE00C1
	s_mov_b32 exec_hi, -1                                      // 000000004B88: BEFF00C1
	v_mov_b32_e32 v177, 0                                      // 000000004B8C: 7F620280
	s_mov_b64 exec, s[90:91]                                   // 000000004B90: BEFE015A
	buffer_load_dword v177, v2, s[12:15], 0 idxen offset:256   // 000000004B94: E0502100 8003B102
	s_mov_b32 exec_lo, -1                                      // 000000004B9C: BEFE00C1
	s_mov_b32 exec_hi, -1                                      // 000000004BA0: BEFF00C1
	s_mul_i32 s60, 4, s6                                       // 000000004BA4: 923C0684
	v_add_u32_e32 v1, s60, v1                                  // 000000004BA8: 6802023C
	v_add_u32_e32 v2, s60, v2                                  // 000000004BAC: 6804043C
	buffer_load_dword v178, v1, s[12:15], 0 idxen              // 000000004BB0: E0502000 8003B201
	buffer_load_dword v179, v2, s[12:15], 0 idxen              // 000000004BB8: E0502000 8003B302
	buffer_load_dword v180, v1, s[12:15], 0 idxen offset:128   // 000000004BC0: E0502080 8003B401
	buffer_load_dword v181, v2, s[12:15], 0 idxen offset:128   // 000000004BC8: E0502080 8003B502
	v_mov_b32_e32 v182, 0                                      // 000000004BD0: 7F6C0280
	s_mov_b64 exec, s[90:91]                                   // 000000004BD4: BEFE015A
	buffer_load_dword v182, v1, s[12:15], 0 idxen offset:256   // 000000004BD8: E0502100 8003B601
	s_mov_b32 exec_lo, -1                                      // 000000004BE0: BEFE00C1
	s_mov_b32 exec_hi, -1                                      // 000000004BE4: BEFF00C1
	v_mov_b32_e32 v183, 0                                      // 000000004BE8: 7F6E0280
	s_mov_b64 exec, s[90:91]                                   // 000000004BEC: BEFE015A
	buffer_load_dword v183, v2, s[12:15], 0 idxen offset:256   // 000000004BF0: E0502100 8003B702
	s_mov_b32 exec_lo, -1                                      // 000000004BF8: BEFE00C1
	s_mov_b32 exec_hi, -1                                      // 000000004BFC: BEFF00C1
	s_mul_i32 s60, 4, s6                                       // 000000004C00: 923C0684
	v_add_u32_e32 v1, s60, v1                                  // 000000004C04: 6802023C
	v_add_u32_e32 v2, s60, v2                                  // 000000004C08: 6804043C
	s_waitcnt vmcnt(0) lgkmcnt(0)                              // 000000004C0C: BF8C0070
	s_barrier                                                  // 000000004C10: BF8A0000
	v_perm_b32 v184, v161, v160, s63                           // 000000004C14: D1ED00B8 00FF41A1
	v_perm_b32 v185, v161, v160, s64                           // 000000004C1C: D1ED00B9 010341A1
	v_perm_b32 v186, v163, v162, s63                           // 000000004C24: D1ED00BA 00FF45A3
	v_perm_b32 v187, v163, v162, s64                           // 000000004C2C: D1ED00BB 010345A3
	v_perm_b32 v188, v165, v164, s63                           // 000000004C34: D1ED00BC 00FF49A5
	v_perm_b32 v189, v165, v164, s64                           // 000000004C3C: D1ED00BD 010349A5
	v_perm_b32 v190, v167, v166, s63                           // 000000004C44: D1ED00BE 00FF4DA7
	v_perm_b32 v191, v167, v166, s64                           // 000000004C4C: D1ED00BF 01034DA7
	v_perm_b32 v192, v169, v168, s63                           // 000000004C54: D1ED00C0 00FF51A9
	v_perm_b32 v193, v169, v168, s64                           // 000000004C5C: D1ED00C1 010351A9
	v_perm_b32 v194, v171, v170, s63                           // 000000004C64: D1ED00C2 00FF55AB
	v_perm_b32 v195, v171, v170, s64                           // 000000004C6C: D1ED00C3 010355AB
	v_perm_b32 v196, v173, v172, s63                           // 000000004C74: D1ED00C4 00FF59AD
	v_perm_b32 v197, v173, v172, s64                           // 000000004C7C: D1ED00C5 010359AD
	v_perm_b32 v198, v175, v174, s63                           // 000000004C84: D1ED00C6 00FF5DAF
	v_perm_b32 v199, v175, v174, s64                           // 000000004C8C: D1ED00C7 01035DAF
	v_perm_b32 v200, v177, v176, s63                           // 000000004C94: D1ED00C8 00FF61B1
	v_perm_b32 v201, v177, v176, s64                           // 000000004C9C: D1ED00C9 010361B1
	v_perm_b32 v202, v179, v178, s63                           // 000000004CA4: D1ED00CA 00FF65B3
	v_perm_b32 v203, v179, v178, s64                           // 000000004CAC: D1ED00CB 010365B3
	v_perm_b32 v204, v181, v180, s63                           // 000000004CB4: D1ED00CC 00FF69B5
	v_perm_b32 v205, v181, v180, s64                           // 000000004CBC: D1ED00CD 010369B5
	v_perm_b32 v206, v183, v182, s63                           // 000000004CC4: D1ED00CE 00FF6DB7
	v_perm_b32 v207, v183, v182, s64                           // 000000004CCC: D1ED00CF 01036DB7
	ds_write_b32 v26, v184 offset:26112                        // 000000004CD4: D81A6600 0000B81A
	ds_write_b32 v26, v185 offset:26120                        // 000000004CDC: D81A6608 0000B91A
	ds_write_b32 v26, v186 offset:28192                        // 000000004CE4: D81A6E20 0000BA1A
	ds_write_b32 v26, v187 offset:28200                        // 000000004CEC: D81A6E28 0000BB1A
	ds_write_b32 v26, v188 offset:30272                        // 000000004CF4: D81A7640 0000BC1A
	ds_write_b32 v26, v189 offset:30280                        // 000000004CFC: D81A7648 0000BD1A
	ds_write_b32 v26, v190 offset:32352                        // 000000004D04: D81A7E60 0000BE1A
	ds_write_b32 v26, v191 offset:32360                        // 000000004D0C: D81A7E68 0000BF1A
	ds_write_b32 v26, v192 offset:34432                        // 000000004D14: D81A8680 0000C01A
	ds_write_b32 v26, v193 offset:34440                        // 000000004D1C: D81A8688 0000C11A
	ds_write_b32 v26, v194 offset:36512                        // 000000004D24: D81A8EA0 0000C21A
	ds_write_b32 v26, v195 offset:36520                        // 000000004D2C: D81A8EA8 0000C31A
	ds_write_b32 v26, v196 offset:38592                        // 000000004D34: D81A96C0 0000C41A
	ds_write_b32 v26, v197 offset:38600                        // 000000004D3C: D81A96C8 0000C51A
	ds_write_b32 v26, v198 offset:40672                        // 000000004D44: D81A9EE0 0000C61A
	ds_write_b32 v26, v199 offset:40680                        // 000000004D4C: D81A9EE8 0000C71A
	ds_write_b32 v26, v200 offset:42752                        // 000000004D54: D81AA700 0000C81A
	ds_write_b32 v26, v201 offset:42760                        // 000000004D5C: D81AA708 0000C91A
	ds_write_b32 v26, v202 offset:44832                        // 000000004D64: D81AAF20 0000CA1A
	ds_write_b32 v26, v203 offset:44840                        // 000000004D6C: D81AAF28 0000CB1A
	ds_write_b32 v26, v204 offset:46912                        // 000000004D74: D81AB740 0000CC1A
	ds_write_b32 v26, v205 offset:46920                        // 000000004D7C: D81AB748 0000CD1A
	ds_write_b32 v26, v206 offset:48992                        // 000000004D84: D81ABF60 0000CE1A
	ds_write_b32 v26, v207 offset:49000                        // 000000004D8C: D81ABF68 0000CF1A
	ds_write_b32 v11, v160                                     // 000000004D94: D81A0000 0000A00B
	ds_write_b32 v11, v161 offset:1056                         // 000000004D9C: D81A0420 0000A10B
	ds_write_b32 v11, v162 offset:2176                         // 000000004DA4: D81A0880 0000A20B
	ds_write_b32 v11, v163 offset:3232                         // 000000004DAC: D81A0CA0 0000A30B
	ds_write_b32 v11, v164 offset:4352                         // 000000004DB4: D81A1100 0000A40B
	ds_write_b32 v11, v165 offset:5408                         // 000000004DBC: D81A1520 0000A50B
	ds_write_b32 v11, v166 offset:6528                         // 000000004DC4: D81A1980 0000A60B
	ds_write_b32 v11, v167 offset:7584                         // 000000004DCC: D81A1DA0 0000A70B
	ds_write_b32 v11, v168 offset:8704                         // 000000004DD4: D81A2200 0000A80B
	ds_write_b32 v11, v169 offset:9760                         // 000000004DDC: D81A2620 0000A90B
	ds_write_b32 v11, v170 offset:10880                        // 000000004DE4: D81A2A80 0000AA0B
	ds_write_b32 v11, v171 offset:11936                        // 000000004DEC: D81A2EA0 0000AB0B
	ds_write_b32 v11, v172 offset:13056                        // 000000004DF4: D81A3300 0000AC0B
	ds_write_b32 v11, v173 offset:14112                        // 000000004DFC: D81A3720 0000AD0B
	ds_write_b32 v11, v174 offset:15232                        // 000000004E04: D81A3B80 0000AE0B
	ds_write_b32 v11, v175 offset:16288                        // 000000004E0C: D81A3FA0 0000AF0B
	ds_write_b32 v11, v176 offset:17408                        // 000000004E14: D81A4400 0000B00B
	ds_write_b32 v11, v177 offset:18464                        // 000000004E1C: D81A4820 0000B10B
	ds_write_b32 v11, v178 offset:19584                        // 000000004E24: D81A4C80 0000B20B
	ds_write_b32 v11, v179 offset:20640                        // 000000004E2C: D81A50A0 0000B30B
	ds_write_b32 v11, v180 offset:21760                        // 000000004E34: D81A5500 0000B40B
	ds_write_b32 v11, v181 offset:22816                        // 000000004E3C: D81A5920 0000B50B
	ds_write_b32 v11, v182 offset:23936                        // 000000004E44: D81A5D80 0000B60B
	ds_write_b32 v11, v183 offset:24992                        // 000000004E4C: D81A61A0 0000B70B
	s_waitcnt lgkmcnt(0)                                       // 000000004E54: BF8CC07F
	s_barrier                                                  // 000000004E58: BF8A0000
	buffer_load_dword v160, v212, s[16:19], 0 idxen            // 000000004E5C: E0502000 8004A0D4
	buffer_load_dword v161, v213, s[16:19], 0 idxen            // 000000004E64: E0502000 8004A1D5
	buffer_load_dword v162, v212, s[16:19], 0 idxen offset:128 // 000000004E6C: E0502080 8004A2D4
	buffer_load_dword v163, v213, s[16:19], 0 idxen offset:128 // 000000004E74: E0502080 8004A3D5
	v_mov_b32_e32 v164, 0                                      // 000000004E7C: 7F480280
	s_mov_b64 exec, s[90:91]                                   // 000000004E80: BEFE015A
	buffer_load_dword v164, v212, s[16:19], 0 idxen offset:256 // 000000004E84: E0502100 8004A4D4
	s_mov_b32 exec_lo, -1                                      // 000000004E8C: BEFE00C1
	s_mov_b32 exec_hi, -1                                      // 000000004E90: BEFF00C1
	v_mov_b32_e32 v165, 0                                      // 000000004E94: 7F4A0280
	s_mov_b64 exec, s[90:91]                                   // 000000004E98: BEFE015A
	buffer_load_dword v165, v213, s[16:19], 0 idxen offset:256 // 000000004E9C: E0502100 8004A5D5
	s_mov_b32 exec_lo, -1                                      // 000000004EA4: BEFE00C1
	s_mov_b32 exec_hi, -1                                      // 000000004EA8: BEFF00C1
	s_mul_i32 s60, 4, s7                                       // 000000004EAC: 923C0784
	v_add_u32_e32 v212, s60, v212                              // 000000004EB0: 69A9A83C
	v_add_u32_e32 v213, s60, v213                              // 000000004EB4: 69ABAA3C
	buffer_load_dword v166, v212, s[16:19], 0 idxen            // 000000004EB8: E0502000 8004A6D4
	buffer_load_dword v167, v213, s[16:19], 0 idxen            // 000000004EC0: E0502000 8004A7D5
	buffer_load_dword v168, v212, s[16:19], 0 idxen offset:128 // 000000004EC8: E0502080 8004A8D4
	buffer_load_dword v169, v213, s[16:19], 0 idxen offset:128 // 000000004ED0: E0502080 8004A9D5
	v_mov_b32_e32 v170, 0                                      // 000000004ED8: 7F540280
	s_mov_b64 exec, s[90:91]                                   // 000000004EDC: BEFE015A
	buffer_load_dword v170, v212, s[16:19], 0 idxen offset:256 // 000000004EE0: E0502100 8004AAD4
	s_mov_b32 exec_lo, -1                                      // 000000004EE8: BEFE00C1
	s_mov_b32 exec_hi, -1                                      // 000000004EEC: BEFF00C1
	v_mov_b32_e32 v171, 0                                      // 000000004EF0: 7F560280
	s_mov_b64 exec, s[90:91]                                   // 000000004EF4: BEFE015A
	buffer_load_dword v171, v213, s[16:19], 0 idxen offset:256 // 000000004EF8: E0502100 8004ABD5
	s_mov_b32 exec_lo, -1                                      // 000000004F00: BEFE00C1
	s_mov_b32 exec_hi, -1                                      // 000000004F04: BEFF00C1
	s_mul_i32 s60, 4, s7                                       // 000000004F08: 923C0784
	v_add_u32_e32 v212, s60, v212                              // 000000004F0C: 69A9A83C
	v_add_u32_e32 v213, s60, v213                              // 000000004F10: 69ABAA3C
	buffer_load_dword v172, v212, s[16:19], 0 idxen            // 000000004F14: E0502000 8004ACD4
	buffer_load_dword v173, v213, s[16:19], 0 idxen            // 000000004F1C: E0502000 8004ADD5
	buffer_load_dword v174, v212, s[16:19], 0 idxen offset:128 // 000000004F24: E0502080 8004AED4
	buffer_load_dword v175, v213, s[16:19], 0 idxen offset:128 // 000000004F2C: E0502080 8004AFD5
	v_mov_b32_e32 v176, 0                                      // 000000004F34: 7F600280
	s_mov_b64 exec, s[90:91]                                   // 000000004F38: BEFE015A
	buffer_load_dword v176, v212, s[16:19], 0 idxen offset:256 // 000000004F3C: E0502100 8004B0D4
	s_mov_b32 exec_lo, -1                                      // 000000004F44: BEFE00C1
	s_mov_b32 exec_hi, -1                                      // 000000004F48: BEFF00C1
	v_mov_b32_e32 v177, 0                                      // 000000004F4C: 7F620280
	s_mov_b64 exec, s[90:91]                                   // 000000004F50: BEFE015A
	buffer_load_dword v177, v213, s[16:19], 0 idxen offset:256 // 000000004F54: E0502100 8004B1D5
	s_mov_b32 exec_lo, -1                                      // 000000004F5C: BEFE00C1
	s_mov_b32 exec_hi, -1                                      // 000000004F60: BEFF00C1
	s_mul_i32 s60, 4, s7                                       // 000000004F64: 923C0784
	v_add_u32_e32 v212, s60, v212                              // 000000004F68: 69A9A83C
	v_add_u32_e32 v213, s60, v213                              // 000000004F6C: 69ABAA3C
	buffer_load_dword v178, v212, s[16:19], 0 idxen            // 000000004F70: E0502000 8004B2D4
	buffer_load_dword v179, v213, s[16:19], 0 idxen            // 000000004F78: E0502000 8004B3D5
	buffer_load_dword v180, v212, s[16:19], 0 idxen offset:128 // 000000004F80: E0502080 8004B4D4
	buffer_load_dword v181, v213, s[16:19], 0 idxen offset:128 // 000000004F88: E0502080 8004B5D5
	v_mov_b32_e32 v182, 0                                      // 000000004F90: 7F6C0280
	s_mov_b64 exec, s[90:91]                                   // 000000004F94: BEFE015A
	buffer_load_dword v182, v212, s[16:19], 0 idxen offset:256 // 000000004F98: E0502100 8004B6D4
	s_mov_b32 exec_lo, -1                                      // 000000004FA0: BEFE00C1
	s_mov_b32 exec_hi, -1                                      // 000000004FA4: BEFF00C1
	v_mov_b32_e32 v183, 0                                      // 000000004FA8: 7F6E0280
	s_mov_b64 exec, s[90:91]                                   // 000000004FAC: BEFE015A
	buffer_load_dword v183, v213, s[16:19], 0 idxen offset:256 // 000000004FB0: E0502100 8004B7D5
	s_mov_b32 exec_lo, -1                                      // 000000004FB8: BEFE00C1
	s_mov_b32 exec_hi, -1                                      // 000000004FBC: BEFF00C1
	s_mul_i32 s60, 4, s7                                       // 000000004FC0: 923C0784
	v_add_u32_e32 v212, s60, v212                              // 000000004FC4: 69A9A83C
	v_add_u32_e32 v213, s60, v213                              // 000000004FC8: 69ABAA3C
	ds_read_b64 a[24:25], v23 offset:26112                     // 000000004FCC: DAEC6600 18000017
	ds_read_b64 a[26:27], v23 offset:26632                     // 000000004FD4: DAEC6808 1A000017
	ds_read_b64 a[28:29], v23 offset:27152                     // 000000004FDC: DAEC6A10 1C000017
	ds_read_b64 a[30:31], v23 offset:26368                     // 000000004FE4: DAEC6700 1E000017
	ds_read_b64 a[32:33], v23 offset:26888                     // 000000004FEC: DAEC6908 20000017
	ds_read_b64 a[34:35], v23 offset:27408                     // 000000004FF4: DAEC6B10 22000017
	ds_read_b64 a[36:37], v23 offset:38592                     // 000000004FFC: DAEC96C0 24000017
	ds_read_b64 a[38:39], v23 offset:39112                     // 000000005004: DAEC98C8 26000017
	ds_read_b64 a[40:41], v23 offset:39632                     // 00000000500C: DAEC9AD0 28000017
	ds_read_b64 a[42:43], v23 offset:38848                     // 000000005014: DAEC97C0 2A000017
	ds_read_b64 a[44:45], v23 offset:39368                     // 00000000501C: DAEC99C8 2C000017
	ds_read_b64 a[46:47], v23 offset:39888                     // 000000005024: DAEC9BD0 2E000017
	ds_read_b128 a[0:3], v22                                   // 00000000502C: DBFE0000 00000016
	ds_read_b128 a[4:7], v22 offset:512                        // 000000005034: DBFE0200 04000016
	ds_read_b128 a[8:11], v22 offset:2176                      // 00000000503C: DBFE0880 08000016
	ds_read_b128 a[12:15], v22 offset:2688                     // 000000005044: DBFE0A80 0C000016
	ds_read_b128 a[16:19], v22 offset:4352                     // 00000000504C: DBFE1100 10000016
	ds_read_b128 a[20:23], v22 offset:4864                     // 000000005054: DBFE1300 14000016
	s_waitcnt vmcnt(0) lgkmcnt(0)                              // 00000000505C: BF8C0070
	s_barrier                                                  // 000000005060: BF8A0000
	ds_write_b32 v11, v160                                     // 000000005064: D81A0000 0000A00B
	ds_write_b32 v11, v161 offset:1056                         // 00000000506C: D81A0420 0000A10B
	ds_write_b32 v11, v162 offset:2176                         // 000000005074: D81A0880 0000A20B
	ds_write_b32 v11, v163 offset:3232                         // 00000000507C: D81A0CA0 0000A30B
	ds_write_b32 v11, v164 offset:4352                         // 000000005084: D81A1100 0000A40B
	ds_write_b32 v11, v165 offset:5408                         // 00000000508C: D81A1520 0000A50B
	ds_write_b32 v11, v166 offset:6528                         // 000000005094: D81A1980 0000A60B
	ds_write_b32 v11, v167 offset:7584                         // 00000000509C: D81A1DA0 0000A70B
	ds_write_b32 v11, v168 offset:8704                         // 0000000050A4: D81A2200 0000A80B
	ds_write_b32 v11, v169 offset:9760                         // 0000000050AC: D81A2620 0000A90B
	ds_write_b32 v11, v170 offset:10880                        // 0000000050B4: D81A2A80 0000AA0B
	ds_write_b32 v11, v171 offset:11936                        // 0000000050BC: D81A2EA0 0000AB0B
	ds_write_b32 v11, v172 offset:13056                        // 0000000050C4: D81A3300 0000AC0B
	ds_write_b32 v11, v173 offset:14112                        // 0000000050CC: D81A3720 0000AD0B
	ds_write_b32 v11, v174 offset:15232                        // 0000000050D4: D81A3B80 0000AE0B
	ds_write_b32 v11, v175 offset:16288                        // 0000000050DC: D81A3FA0 0000AF0B
	ds_write_b32 v11, v176 offset:17408                        // 0000000050E4: D81A4400 0000B00B
	ds_write_b32 v11, v177 offset:18464                        // 0000000050EC: D81A4820 0000B10B
	ds_write_b32 v11, v178 offset:19584                        // 0000000050F4: D81A4C80 0000B20B
	ds_write_b32 v11, v179 offset:20640                        // 0000000050FC: D81A50A0 0000B30B
	ds_write_b32 v11, v180 offset:21760                        // 000000005104: D81A5500 0000B40B
	ds_write_b32 v11, v181 offset:22816                        // 00000000510C: D81A5920 0000B50B
	ds_write_b32 v11, v182 offset:23936                        // 000000005114: D81A5D80 0000B60B
	ds_write_b32 v11, v183 offset:24992                        // 00000000511C: D81A61A0 0000B70B
	s_mov_b32 s71, s5                                          // 000000005124: BEC70005
	v_lshrrev_b32_e32 v28, 4, v0                               // 000000005128: 20380084
	v_and_b32_e32 v29, 1, v28                                  // 00000000512C: 263A3881
	v_lshlrev_b32_e32 v29, 1, v29                              // 000000005130: 243A3A81
	v_mul_i32_i24_e32 v29, s71, v29                            // 000000005134: 0C3A3A47
	v_and_b32_e32 v30, 2, v28                                  // 000000005138: 263C3882
	v_lshlrev_b32_e32 v30, 5, v30                              // 00000000513C: 243C3C85
	v_add_u32_e32 v29, v30, v29                                // 000000005140: 683A3B1E
	v_and_b32_e32 v28, 15, v0                                  // 000000005144: 2638008F
	v_lshlrev_b32_e32 v28, 2, v28                              // 000000005148: 24383882
	v_add_u32_e32 v1, v28, v29                                 // 00000000514C: 68023B1C
	s_mul_i32 s60, s46, s71                                    // 000000005150: 923C472E
	s_mul_i32 s60, s60, 4                                      // 000000005154: 923C843C
	v_add_u32_e32 v1, s60, v1                                  // 000000005158: 6802023C
	v_add_u32_e32 v2, s71, v1                                  // 00000000515C: 68040247
	s_mov_b32 s71, s51                                         // 000000005160: BEC70033
	v_lshrrev_b32_e32 v28, 4, v0                               // 000000005164: 20380084
	v_and_b32_e32 v29, 1, v28                                  // 000000005168: 263A3881
	v_lshlrev_b32_e32 v29, 1, v29                              // 00000000516C: 243A3A81
	v_mul_i32_i24_e32 v29, s71, v29                            // 000000005170: 0C3A3A47
	v_and_b32_e32 v30, 2, v28                                  // 000000005174: 263C3882
	v_lshlrev_b32_e32 v30, 5, v30                              // 000000005178: 243C3C85
	v_add_u32_e32 v29, v30, v29                                // 00000000517C: 683A3B1E
	v_and_b32_e32 v28, 15, v0                                  // 000000005180: 2638008F
	v_lshlrev_b32_e32 v28, 2, v28                              // 000000005184: 24383882
	v_add_u32_e32 v212, v28, v29                               // 000000005188: 69A83B1C
	s_mul_i32 s60, s46, s71                                    // 00000000518C: 923C472E
	s_mul_i32 s60, s60, 4                                      // 000000005190: 923C843C
	v_add_u32_e32 v212, s60, v212                              // 000000005194: 69A9A83C
	v_add_u32_e32 v213, s71, v212                              // 000000005198: 69ABA847
	v_lshrrev_b32_e32 v1, 2, v1                                // 00000000519C: 20020282
	v_lshrrev_b32_e32 v2, 2, v2                                // 0000000051A0: 20040482
	v_lshrrev_b32_e32 v212, 2, v212                            // 0000000051A4: 21A9A882
	v_lshrrev_b32_e32 v213, 2, v213                            // 0000000051A8: 21ABAA82
	buffer_load_dword v32, v1, s[8:11], 0 idxen                // 0000000051AC: E0502000 80022001
	buffer_load_dword v33, v2, s[8:11], 0 idxen                // 0000000051B4: E0502000 80022102
	buffer_load_dword v34, v1, s[8:11], 0 idxen offset:128     // 0000000051BC: E0502080 80022201
	buffer_load_dword v35, v2, s[8:11], 0 idxen offset:128     // 0000000051C4: E0502080 80022302
	v_mov_b32_e32 v36, 0                                       // 0000000051CC: 7E480280
	s_mov_b64 exec, s[90:91]                                   // 0000000051D0: BEFE015A
	buffer_load_dword v36, v1, s[8:11], 0 idxen offset:256     // 0000000051D4: E0502100 80022401
	s_mov_b32 exec_lo, -1                                      // 0000000051DC: BEFE00C1
	s_mov_b32 exec_hi, -1                                      // 0000000051E0: BEFF00C1
	v_mov_b32_e32 v37, 0                                       // 0000000051E4: 7E4A0280
	s_mov_b64 exec, s[90:91]                                   // 0000000051E8: BEFE015A
	buffer_load_dword v37, v2, s[8:11], 0 idxen offset:256     // 0000000051EC: E0502100 80022502
	s_mov_b32 exec_lo, -1                                      // 0000000051F4: BEFE00C1
	s_mov_b32 exec_hi, -1                                      // 0000000051F8: BEFF00C1
	buffer_load_dword v44, v212, s[20:23], 0 idxen             // 0000000051FC: E0502000 80052CD4
	buffer_load_dword v45, v213, s[20:23], 0 idxen             // 000000005204: E0502000 80052DD5
	buffer_load_dword v46, v212, s[20:23], 0 idxen offset:128  // 00000000520C: E0502080 80052ED4
	buffer_load_dword v47, v213, s[20:23], 0 idxen offset:128  // 000000005214: E0502080 80052FD5
	v_mov_b32_e32 v48, 0                                       // 00000000521C: 7E600280
	s_mov_b64 exec, s[90:91]                                   // 000000005220: BEFE015A
	buffer_load_dword v48, v212, s[20:23], 0 idxen offset:256  // 000000005224: E0502100 800530D4
	s_mov_b32 exec_lo, -1                                      // 00000000522C: BEFE00C1
	s_mov_b32 exec_hi, -1                                      // 000000005230: BEFF00C1
	v_mov_b32_e32 v49, 0                                       // 000000005234: 7E620280
	s_mov_b64 exec, s[90:91]                                   // 000000005238: BEFE015A
	buffer_load_dword v49, v213, s[20:23], 0 idxen offset:256  // 00000000523C: E0502100 800531D5
	s_mov_b32 exec_lo, -1                                      // 000000005244: BEFE00C1
	s_mov_b32 exec_hi, -1                                      // 000000005248: BEFF00C1
	s_waitcnt lgkmcnt(0)                                       // 00000000524C: BF8CC07F
	s_barrier                                                  // 000000005250: BF8A0000
	ds_read_b128 a[48:51], v22                                 // 000000005254: DBFE0000 30000016
	ds_read_b128 a[52:55], v22 offset:512                      // 00000000525C: DBFE0200 34000016
	ds_read_b128 a[56:59], v22 offset:2176                     // 000000005264: DBFE0880 38000016
	ds_read_b128 a[60:63], v22 offset:2688                     // 00000000526C: DBFE0A80 3C000016
	ds_read_b128 a[64:67], v22 offset:4352                     // 000000005274: DBFE1100 40000016
	ds_read_b128 a[68:71], v22 offset:4864                     // 00000000527C: DBFE1300 44000016
	v_add_u32_e32 v1, s68, v1                                  // 000000005284: 68020244
	v_add_u32_e32 v2, s68, v2                                  // 000000005288: 68040444
	v_add_u32_e32 v212, s99, v212                              // 00000000528C: 69A9A863
	v_add_u32_e32 v213, s99, v213                              // 000000005290: 69ABAA63
	buffer_load_dword v38, v1, s[8:11], 0 idxen                // 000000005294: E0502000 80022601
	buffer_load_dword v39, v2, s[8:11], 0 idxen                // 00000000529C: E0502000 80022702
	buffer_load_dword v40, v1, s[8:11], 0 idxen offset:128     // 0000000052A4: E0502080 80022801
	buffer_load_dword v41, v2, s[8:11], 0 idxen offset:128     // 0000000052AC: E0502080 80022902
	v_mov_b32_e32 v42, 0                                       // 0000000052B4: 7E540280
	s_mov_b64 exec, s[90:91]                                   // 0000000052B8: BEFE015A
	buffer_load_dword v42, v1, s[8:11], 0 idxen offset:256     // 0000000052BC: E0502100 80022A01
	s_mov_b32 exec_lo, -1                                      // 0000000052C4: BEFE00C1
	s_mov_b32 exec_hi, -1                                      // 0000000052C8: BEFF00C1
	v_mov_b32_e32 v43, 0                                       // 0000000052CC: 7E560280
	s_mov_b64 exec, s[90:91]                                   // 0000000052D0: BEFE015A
	buffer_load_dword v43, v2, s[8:11], 0 idxen offset:256     // 0000000052D4: E0502100 80022B02
	s_mov_b32 exec_lo, -1                                      // 0000000052DC: BEFE00C1
	s_mov_b32 exec_hi, -1                                      // 0000000052E0: BEFF00C1
	buffer_load_dword v50, v212, s[20:23], 0 idxen             // 0000000052E4: E0502000 800532D4
	buffer_load_dword v51, v213, s[20:23], 0 idxen             // 0000000052EC: E0502000 800533D5
	buffer_load_dword v52, v212, s[20:23], 0 idxen offset:128  // 0000000052F4: E0502080 800534D4
	buffer_load_dword v53, v213, s[20:23], 0 idxen offset:128  // 0000000052FC: E0502080 800535D5
	v_mov_b32_e32 v54, 0                                       // 000000005304: 7E6C0280
	s_mov_b64 exec, s[90:91]                                   // 000000005308: BEFE015A
	buffer_load_dword v54, v212, s[20:23], 0 idxen offset:256  // 00000000530C: E0502100 800536D4
	s_mov_b32 exec_lo, -1                                      // 000000005314: BEFE00C1
	s_mov_b32 exec_hi, -1                                      // 000000005318: BEFF00C1
	v_mov_b32_e32 v55, 0                                       // 00000000531C: 7E6E0280
	s_mov_b64 exec, s[90:91]                                   // 000000005320: BEFE015A
	buffer_load_dword v55, v213, s[20:23], 0 idxen offset:256  // 000000005324: E0502100 800537D5
	s_mov_b32 exec_lo, -1                                      // 00000000532C: BEFE00C1
	s_mov_b32 exec_hi, -1                                      // 000000005330: BEFF00C1
	v_add_u32_e32 v1, s68, v1                                  // 000000005334: 68020244
	v_add_u32_e32 v2, s68, v2                                  // 000000005338: 68040444
	v_add_u32_e32 v212, s99, v212                              // 00000000533C: 69A9A863
	v_add_u32_e32 v213, s99, v213                              // 000000005340: 69ABAA63
	s_waitcnt vmcnt(12) lgkmcnt(0)                             // 000000005344: BF8C007C
	s_barrier                                                  // 000000005348: BF8A0000
	buffer_load_dword v9, s[24:27], 0 idxen lds                // 00000000534C: E0512000 80060009
	s_mov_b32 m0, s81                                          // 000000005354: BEFC0051
	v_add_u32_e32 v9, s69, v9                                  // 000000005358: 68121245
	v_perm_b32 v68, v33, v32, s63                              // 00000000535C: D1ED0044 00FE4121
	v_perm_b32 v69, v33, v32, s64                              // 000000005364: D1ED0045 01024121
	v_perm_b32 v70, v35, v34, s63                              // 00000000536C: D1ED0046 00FE4523
	v_perm_b32 v71, v35, v34, s64                              // 000000005374: D1ED0047 01024523
	v_perm_b32 v72, v37, v36, s63                              // 00000000537C: D1ED0048 00FE4925
	v_perm_b32 v73, v37, v36, s64                              // 000000005384: D1ED0049 01024925
	ds_write_b32 v13, v68 offset:6528                          // 00000000538C: D81A1980 0000440D
	ds_write_b32 v13, v69 offset:7584                          // 000000005394: D81A1DA0 0000450D
	ds_write_b32 v13, v70 offset:8704                          // 00000000539C: D81A2200 0000460D
	ds_write_b32 v13, v71 offset:9760                          // 0000000053A4: D81A2620 0000470D
	ds_write_b32 v13, v72 offset:10880                         // 0000000053AC: D81A2A80 0000480D
	ds_write_b32 v13, v73 offset:11936                         // 0000000053B4: D81A2EA0 0000490D
	ds_write_b32 v11, v32                                      // 0000000053BC: D81A0000 0000200B
	ds_write_b32 v11, v33 offset:1056                          // 0000000053C4: D81A0420 0000210B
	ds_write_b32 v11, v34 offset:2176                          // 0000000053CC: D81A0880 0000220B
	ds_write_b32 v11, v35 offset:3232                          // 0000000053D4: D81A0CA0 0000230B
	ds_write_b32 v11, v36 offset:4352                          // 0000000053DC: D81A1100 0000240B
	ds_write_b32 v11, v37 offset:5408                          // 0000000053E4: D81A1520 0000250B
	buffer_load_dword v9, s[24:27], 0 idxen lds                // 0000000053EC: E0512000 80060009
	s_mov_b32 m0, s80                                          // 0000000053F4: BEFC0050
	v_add_u32_e32 v9, s69, v9                                  // 0000000053F8: 68121245
	v_perm_b32 v74, v45, v44, s63                              // 0000000053FC: D1ED004A 00FE592D
	v_perm_b32 v75, v45, v44, s64                              // 000000005404: D1ED004B 0102592D
	v_perm_b32 v76, v47, v46, s63                              // 00000000540C: D1ED004C 00FE5D2F
	v_perm_b32 v77, v47, v46, s64                              // 000000005414: D1ED004D 01025D2F
	v_perm_b32 v78, v49, v48, s63                              // 00000000541C: D1ED004E 00FE6131
	v_perm_b32 v79, v49, v48, s64                              // 000000005424: D1ED004F 01026131
	ds_write_b32 v13, v74 offset:19584                         // 00000000542C: D81A4C80 00004A0D
	ds_write_b32 v13, v75 offset:20640                         // 000000005434: D81A50A0 00004B0D
	ds_write_b32 v13, v76 offset:21760                         // 00000000543C: D81A5500 00004C0D
	ds_write_b32 v13, v77 offset:22816                         // 000000005444: D81A5920 00004D0D
	ds_write_b32 v13, v78 offset:23936                         // 00000000544C: D81A5D80 00004E0D
	ds_write_b32 v13, v79 offset:24992                         // 000000005454: D81A61A0 00004F0D
	ds_write_b32 v11, v44 offset:13056                         // 00000000545C: D81A3300 00002C0B
	ds_write_b32 v11, v45 offset:14112                         // 000000005464: D81A3720 00002D0B
	ds_write_b32 v11, v46 offset:15232                         // 00000000546C: D81A3B80 00002E0B
	ds_write_b32 v11, v47 offset:16288                         // 000000005474: D81A3FA0 00002F0B
	ds_write_b32 v11, v48 offset:17408                         // 00000000547C: D81A4400 0000300B
	ds_write_b32 v11, v49 offset:18464                         // 000000005484: D81A4820 0000310B
	s_waitcnt vmcnt(1) lgkmcnt(0)                              // 00000000548C: BF8C0071
	s_barrier                                                  // 000000005490: BF8A0000
	ds_read_b128 a[72:75], v10                                 // 000000005494: DBFE0000 4800000A
	ds_read_b128 a[76:79], v10 offset:512                      // 00000000549C: DBFE0200 4C00000A
	ds_read_b128 a[80:83], v10 offset:2176                     // 0000000054A4: DBFE0880 5000000A
	ds_read_b128 a[84:87], v10 offset:2688                     // 0000000054AC: DBFE0A80 5400000A
	ds_read_b128 a[88:91], v10 offset:4352                     // 0000000054B4: DBFE1100 5800000A
	ds_read_b128 a[92:95], v10 offset:4864                     // 0000000054BC: DBFE1300 5C00000A
	ds_read_b128 v[80:83], v10 offset:13056                    // 0000000054C4: D9FE3300 5000000A
	ds_read_b128 v[84:87], v10 offset:13568                    // 0000000054CC: D9FE3500 5400000A
	ds_read_b128 v[88:91], v10 offset:15232                    // 0000000054D4: D9FE3B80 5800000A
	ds_read_b128 v[92:95], v10 offset:15744                    // 0000000054DC: D9FE3D80 5C00000A
	ds_read_b128 v[96:99], v10 offset:17408                    // 0000000054E4: D9FE4400 6000000A
	ds_read_b128 v[100:103], v10 offset:17920                  // 0000000054EC: D9FE4600 6400000A
	ds_read_b32 v128, v21 offset:40704                         // 0000000054F4: D86C9F00 80000015
	ds_read_b32 v158, v21 offset:40960                         // 0000000054FC: D86CA000 9E000015
	v_accvgpr_write_b32 a96, 0                                 // 000000005504: D3D94060 18000080
	v_mov_b32_e32 v160, 0                                      // 00000000550C: 7F400280
	v_accvgpr_write_b32 a97, 0                                 // 000000005510: D3D94061 18000080
	v_mov_b32_e32 v161, 0                                      // 000000005518: 7F420280
	v_accvgpr_write_b32 a98, 0                                 // 00000000551C: D3D94062 18000080
	v_mov_b32_e32 v162, 0                                      // 000000005524: 7F440280
	v_accvgpr_write_b32 a99, 0                                 // 000000005528: D3D94063 18000080
	v_mov_b32_e32 v163, 0                                      // 000000005530: 7F460280
	v_accvgpr_write_b32 a100, 0                                // 000000005534: D3D94064 18000080
	v_mov_b32_e32 v164, 0                                      // 00000000553C: 7F480280
	v_accvgpr_write_b32 a101, 0                                // 000000005540: D3D94065 18000080
	v_mov_b32_e32 v165, 0                                      // 000000005548: 7F4A0280
	v_accvgpr_write_b32 a102, 0                                // 00000000554C: D3D94066 18000080
	v_mov_b32_e32 v166, 0                                      // 000000005554: 7F4C0280
	v_accvgpr_write_b32 a103, 0                                // 000000005558: D3D94067 18000080
	v_mov_b32_e32 v167, 0                                      // 000000005560: 7F4E0280
	v_accvgpr_write_b32 a104, 0                                // 000000005564: D3D94068 18000080
	v_mov_b32_e32 v168, 0                                      // 00000000556C: 7F500280
	v_accvgpr_write_b32 a105, 0                                // 000000005570: D3D94069 18000080
	v_mov_b32_e32 v169, 0                                      // 000000005578: 7F520280
	v_accvgpr_write_b32 a106, 0                                // 00000000557C: D3D9406A 18000080
	v_mov_b32_e32 v170, 0                                      // 000000005584: 7F540280
	v_accvgpr_write_b32 a107, 0                                // 000000005588: D3D9406B 18000080
	v_mov_b32_e32 v171, 0                                      // 000000005590: 7F560280
	v_accvgpr_write_b32 a108, 0                                // 000000005594: D3D9406C 18000080
	v_mov_b32_e32 v172, 0                                      // 00000000559C: 7F580280
	v_accvgpr_write_b32 a109, 0                                // 0000000055A0: D3D9406D 18000080
	v_mov_b32_e32 v173, 0                                      // 0000000055A8: 7F5A0280
	v_accvgpr_write_b32 a110, 0                                // 0000000055AC: D3D9406E 18000080
	v_mov_b32_e32 v174, 0                                      // 0000000055B4: 7F5C0280
	v_accvgpr_write_b32 a111, 0                                // 0000000055B8: D3D9406F 18000080
	v_mov_b32_e32 v175, 0                                      // 0000000055C0: 7F5E0280
	v_accvgpr_write_b32 a112, 0                                // 0000000055C4: D3D94070 18000080
	v_mov_b32_e32 v176, 0                                      // 0000000055CC: 7F600280
	v_accvgpr_write_b32 a113, 0                                // 0000000055D0: D3D94071 18000080
	v_mov_b32_e32 v177, 0                                      // 0000000055D8: 7F620280
	v_accvgpr_write_b32 a114, 0                                // 0000000055DC: D3D94072 18000080
	v_mov_b32_e32 v178, 0                                      // 0000000055E4: 7F640280
	v_accvgpr_write_b32 a115, 0                                // 0000000055E8: D3D94073 18000080
	v_mov_b32_e32 v179, 0                                      // 0000000055F0: 7F660280
	v_accvgpr_write_b32 a116, 0                                // 0000000055F4: D3D94074 18000080
	v_mov_b32_e32 v180, 0                                      // 0000000055FC: 7F680280
	v_accvgpr_write_b32 a117, 0                                // 000000005600: D3D94075 18000080
	v_mov_b32_e32 v181, 0                                      // 000000005608: 7F6A0280
	v_accvgpr_write_b32 a118, 0                                // 00000000560C: D3D94076 18000080
	v_mov_b32_e32 v182, 0                                      // 000000005614: 7F6C0280
	v_accvgpr_write_b32 a119, 0                                // 000000005618: D3D94077 18000080
	v_mov_b32_e32 v183, 0                                      // 000000005620: 7F6E0280
	v_accvgpr_write_b32 a120, 0                                // 000000005624: D3D94078 18000080
	v_mov_b32_e32 v184, 0                                      // 00000000562C: 7F700280
	v_accvgpr_write_b32 a121, 0                                // 000000005630: D3D94079 18000080
	v_mov_b32_e32 v185, 0                                      // 000000005638: 7F720280
	v_accvgpr_write_b32 a122, 0                                // 00000000563C: D3D9407A 18000080
	v_mov_b32_e32 v186, 0                                      // 000000005644: 7F740280
	v_accvgpr_write_b32 a123, 0                                // 000000005648: D3D9407B 18000080
	v_mov_b32_e32 v187, 0                                      // 000000005650: 7F760280
	v_accvgpr_write_b32 a124, 0                                // 000000005654: D3D9407C 18000080
	v_mov_b32_e32 v188, 0                                      // 00000000565C: 7F780280
	v_accvgpr_write_b32 a125, 0                                // 000000005660: D3D9407D 18000080
	v_mov_b32_e32 v189, 0                                      // 000000005668: 7F7A0280
	v_accvgpr_write_b32 a126, 0                                // 00000000566C: D3D9407E 18000080
	v_mov_b32_e32 v190, 0                                      // 000000005674: 7F7C0280
	v_accvgpr_write_b32 a127, 0                                // 000000005678: D3D9407F 18000080
	v_mov_b32_e32 v191, 0                                      // 000000005680: 7F7E0280
	v_accvgpr_write_b32 a128, 0                                // 000000005684: D3D94080 18000080
	v_mov_b32_e32 v192, 0                                      // 00000000568C: 7F800280
	v_accvgpr_write_b32 a129, 0                                // 000000005690: D3D94081 18000080
	v_mov_b32_e32 v193, 0                                      // 000000005698: 7F820280
	v_accvgpr_write_b32 a130, 0                                // 00000000569C: D3D94082 18000080
	v_mov_b32_e32 v194, 0                                      // 0000000056A4: 7F840280
	v_accvgpr_write_b32 a131, 0                                // 0000000056A8: D3D94083 18000080
	v_mov_b32_e32 v195, 0                                      // 0000000056B0: 7F860280
	v_accvgpr_write_b32 a132, 0                                // 0000000056B4: D3D94084 18000080
	v_mov_b32_e32 v196, 0                                      // 0000000056BC: 7F880280
	v_accvgpr_write_b32 a133, 0                                // 0000000056C0: D3D94085 18000080
	v_mov_b32_e32 v197, 0                                      // 0000000056C8: 7F8A0280
	v_accvgpr_write_b32 a134, 0                                // 0000000056CC: D3D94086 18000080
	v_mov_b32_e32 v198, 0                                      // 0000000056D4: 7F8C0280
	v_accvgpr_write_b32 a135, 0                                // 0000000056D8: D3D94087 18000080
	v_mov_b32_e32 v199, 0                                      // 0000000056E0: 7F8E0280
	v_accvgpr_write_b32 a136, 0                                // 0000000056E4: D3D94088 18000080
	v_mov_b32_e32 v200, 0                                      // 0000000056EC: 7F900280
	v_accvgpr_write_b32 a137, 0                                // 0000000056F0: D3D94089 18000080
	v_mov_b32_e32 v201, 0                                      // 0000000056F8: 7F920280
	v_accvgpr_write_b32 a138, 0                                // 0000000056FC: D3D9408A 18000080
	v_mov_b32_e32 v202, 0                                      // 000000005704: 7F940280
	v_accvgpr_write_b32 a139, 0                                // 000000005708: D3D9408B 18000080
	v_mov_b32_e32 v203, 0                                      // 000000005710: 7F960280
	v_accvgpr_write_b32 a140, 0                                // 000000005714: D3D9408C 18000080
	v_mov_b32_e32 v204, 0                                      // 00000000571C: 7F980280
	v_accvgpr_write_b32 a141, 0                                // 000000005720: D3D9408D 18000080
	v_mov_b32_e32 v205, 0                                      // 000000005728: 7F9A0280
	v_accvgpr_write_b32 a142, 0                                // 00000000572C: D3D9408E 18000080
	v_mov_b32_e32 v206, 0                                      // 000000005734: 7F9C0280
	v_accvgpr_write_b32 a143, 0                                // 000000005738: D3D9408F 18000080
	v_mov_b32_e32 v207, 0                                      // 000000005740: 7F9E0280
	v_mov_b32_e32 v144, 0                                      // 000000005744: 7F200280
	v_mov_b32_e32 v145, 0                                      // 000000005748: 7F220280
	v_mov_b32_e32 v146, 0                                      // 00000000574C: 7F240280
	v_mov_b32_e32 v147, 0                                      // 000000005750: 7F260280
	v_mov_b32_e32 v148, 0                                      // 000000005754: 7F280280
	v_mov_b32_e32 v149, 0                                      // 000000005758: 7F2A0280
	v_mov_b32_e32 v150, 0                                      // 00000000575C: 7F2C0280
	v_mov_b32_e32 v151, 0                                      // 000000005760: 7F2E0280
	v_mov_b32_e32 v152, 0                                      // 000000005764: 7F300280
	v_mov_b32_e32 v153, 0                                      // 000000005768: 7F320280
	v_mov_b32_e32 v154, 0                                      // 00000000576C: 7F340280
	v_mov_b32_e32 v155, 0                                      // 000000005770: 7F360280
	v_mov_b32_e32 v132, 0                                      // 000000005774: 7F080280
	v_mov_b32_e32 v133, 0                                      // 000000005778: 7F0A0280
	v_mov_b32_e32 v134, 0                                      // 00000000577C: 7F0C0280
	v_mov_b32_e32 v135, 0                                      // 000000005780: 7F0E0280
	v_mov_b32_e32 v136, 0                                      // 000000005784: 7F100280
	v_mov_b32_e32 v137, 0                                      // 000000005788: 7F120280
	v_mov_b32_e32 v138, 0                                      // 00000000578C: 7F140280
	v_mov_b32_e32 v139, 0                                      // 000000005790: 7F160280
	v_mov_b32_e32 v140, 0                                      // 000000005794: 7F180280
	v_mov_b32_e32 v141, 0                                      // 000000005798: 7F1A0280
	v_mov_b32_e32 v142, 0                                      // 00000000579C: 7F1C0280
	v_mov_b32_e32 v143, 0                                      // 0000000057A0: 7F1E0280
	s_waitcnt lgkmcnt(0)                                       // 0000000057A4: BF8CC07F
	s_barrier                                                  // 0000000057A8: BF8A0000
	buffer_load_dword v32, v1, s[8:11], 0 idxen                // 0000000057AC: E0502000 80022001
	buffer_load_dword v33, v2, s[8:11], 0 idxen                // 0000000057B4: E0502000 80022102
	buffer_load_dword v34, v1, s[8:11], 0 idxen offset:128     // 0000000057BC: E0502080 80022201
	buffer_load_dword v35, v2, s[8:11], 0 idxen offset:128     // 0000000057C4: E0502080 80022302
	v_mov_b32_e32 v36, 0                                       // 0000000057CC: 7E480280
	s_mov_b64 exec, s[90:91]                                   // 0000000057D0: BEFE015A
	buffer_load_dword v36, v1, s[8:11], 0 idxen offset:256     // 0000000057D4: E0502100 80022401
	s_mov_b32 exec_lo, -1                                      // 0000000057DC: BEFE00C1
	s_mov_b32 exec_hi, -1                                      // 0000000057E0: BEFF00C1
	v_mov_b32_e32 v37, 0                                       // 0000000057E4: 7E4A0280
	s_mov_b64 exec, s[90:91]                                   // 0000000057E8: BEFE015A
	buffer_load_dword v37, v2, s[8:11], 0 idxen offset:256     // 0000000057EC: E0502100 80022502
	s_mov_b32 exec_lo, -1                                      // 0000000057F4: BEFE00C1
	s_mov_b32 exec_hi, -1                                      // 0000000057F8: BEFF00C1
	buffer_load_dword v44, v212, s[20:23], 0 idxen             // 0000000057FC: E0502000 80052CD4
	buffer_load_dword v45, v213, s[20:23], 0 idxen             // 000000005804: E0502000 80052DD5
	buffer_load_dword v46, v212, s[20:23], 0 idxen offset:128  // 00000000580C: E0502080 80052ED4
	buffer_load_dword v47, v213, s[20:23], 0 idxen offset:128  // 000000005814: E0502080 80052FD5
	v_mov_b32_e32 v48, 0                                       // 00000000581C: 7E600280
	s_mov_b64 exec, s[90:91]                                   // 000000005820: BEFE015A
	buffer_load_dword v48, v212, s[20:23], 0 idxen offset:256  // 000000005824: E0502100 800530D4
	s_mov_b32 exec_lo, -1                                      // 00000000582C: BEFE00C1
	s_mov_b32 exec_hi, -1                                      // 000000005830: BEFF00C1
	v_mov_b32_e32 v49, 0                                       // 000000005834: 7E620280
	s_mov_b64 exec, s[90:91]                                   // 000000005838: BEFE015A
	buffer_load_dword v49, v213, s[20:23], 0 idxen offset:256  // 00000000583C: E0502100 800531D5
	s_mov_b32 exec_lo, -1                                      // 000000005844: BEFE00C1
	s_mov_b32 exec_hi, -1                                      // 000000005848: BEFF00C1
	buffer_load_dword v9, s[24:27], 0 idxen lds                // 00000000584C: E0512000 80060009
	s_mov_b32 m0, s81                                          // 000000005854: BEFC0051
	v_add_u32_e32 v9, s69, v9                                  // 000000005858: 68121245
	v_add_u32_e32 v1, s68, v1                                  // 00000000585C: 68020244
	v_add_u32_e32 v2, s68, v2                                  // 000000005860: 68040444
	v_add_u32_e32 v212, s99, v212                              // 000000005864: 69A9A863
	v_add_u32_e32 v213, s99, v213                              // 000000005868: 69ABAA63
	v_mul_f32_e32 v128, s48, v128                              // 00000000586C: 0B010030
	v_perm_b32 v68, v39, v38, s63                              // 000000005870: D1ED0044 00FE4D27
	v_perm_b32 v69, v39, v38, s64                              // 000000005878: D1ED0045 01024D27
	v_perm_b32 v70, v41, v40, s63                              // 000000005880: D1ED0046 00FE5129
	v_perm_b32 v71, v41, v40, s64                              // 000000005888: D1ED0047 01025129
	v_perm_b32 v72, v43, v42, s63                              // 000000005890: D1ED0048 00FE552B
	v_perm_b32 v73, v43, v42, s64                              // 000000005898: D1ED0049 0102552B
	v_perm_b32 v74, v51, v50, s63                              // 0000000058A0: D1ED004A 00FE6533
	v_perm_b32 v75, v51, v50, s64                              // 0000000058A8: D1ED004B 01026533
	v_perm_b32 v76, v53, v52, s63                              // 0000000058B0: D1ED004C 00FE6935
	v_perm_b32 v77, v53, v52, s64                              // 0000000058B8: D1ED004D 01026935
	v_perm_b32 v78, v55, v54, s63                              // 0000000058C0: D1ED004E 00FE6D37
	v_perm_b32 v79, v55, v54, s64                              // 0000000058C8: D1ED004F 01026D37
	v_mov_b32_dpp v131, v128 quad_perm:[3,3,3,3] row_mask:0xf bank_mask:0xf// 0000000058D0: 7F0602FA FF00FF80
	v_mov_b32_dpp v130, v128 quad_perm:[2,2,2,2] row_mask:0xf bank_mask:0xf// 0000000058D8: 7F0402FA FF00AA80
	v_mov_b32_dpp v129, v128 quad_perm:[1,1,1,1] row_mask:0xf bank_mask:0xf// 0000000058E0: 7F0202FA FF005580
	v_mov_b32_dpp v128, v128 quad_perm:[0,0,0,0] row_mask:0xf bank_mask:0xf// 0000000058E8: 7F0002FA FF000080
	s_waitcnt vmcnt(13)                                        // 0000000058F0: BF8C0F7D
	s_barrier                                                  // 0000000058F4: BF8A0000
	s_cmp_lt_i32 s46, 2                                        // 0000000058F8: BF04822E
	s_cbranch_scc0 label_0AC4                                  // 0000000058FC: BF840484
	s_nop 0                                                    // 000000005900: BF800000
	s_nop 0                                                    // 000000005904: BF800000

0000000000005908 <label_0642>:
	s_waitcnt lgkmcnt(0)                                       // 000000005908: BF8CC07F
	s_barrier                                                  // 00000000590C: BF8A0000
	v_mfma_f32_16x16x16_bf16 v[56:59], a[72:73], a[0:1], 0     // 000000005910: D3E10038 1A020148
	ds_write_b32 v11, v50 offset:13056                         // 000000005918: D81A3300 0000320B
	ds_write_b32 v11, v51 offset:14112                         // 000000005920: D81A3720 0000330B
	ds_write_b32 v11, v52 offset:15232                         // 000000005928: D81A3B80 0000340B
	v_mfma_f32_16x16x16_bf16 v[56:59], a[74:75], a[2:3], v[56:59]// 000000005930: D3E10038 1CE2054A
	v_mul_f32_e32 v132, s47, v132                              // 000000005938: 0B09082F
	v_mul_f32_e32 v133, s47, v133                              // 00000000593C: 0B0B0A2F
	v_mul_f32_e32 v134, s47, v134                              // 000000005940: 0B0D0C2F
	v_mul_f32_e32 v135, s47, v135                              // 000000005944: 0B0F0E2F
	v_mfma_f32_16x16x16_bf16 v[56:59], a[76:77], a[4:5], v[56:59]// 000000005948: D3E10038 1CE2094C
	ds_write_b32 v11, v53 offset:16288                         // 000000005950: D81A3FA0 0000350B
	ds_write_b32 v11, v54 offset:17408                         // 000000005958: D81A4400 0000360B
	ds_write_b32 v11, v55 offset:18464                         // 000000005960: D81A4820 0000370B
	v_mfma_f32_16x16x16_bf16 v[56:59], a[78:79], a[6:7], v[56:59]// 000000005968: D3E10038 1CE20D4E
	v_mul_f32_e32 v136, s47, v136                              // 000000005970: 0B11102F
	v_mul_f32_e32 v137, s47, v137                              // 000000005974: 0B13122F
	v_mul_f32_e32 v138, s47, v138                              // 000000005978: 0B15142F
	v_mul_f32_e32 v139, s47, v139                              // 00000000597C: 0B17162F
	v_mfma_f32_16x16x16_bf16 v[56:59], a[80:81], a[8:9], v[56:59]// 000000005980: D3E10038 1CE21150
	ds_write_b64 v20, v[132:133] offset:28416                  // 000000005988: D89A6F00 00008414
	ds_write_b64 v20, v[134:135] offset:28928                  // 000000005990: D89A7100 00008614
	v_mfma_f32_16x16x16_bf16 v[56:59], a[82:83], a[10:11], v[56:59]// 000000005998: D3E10038 1CE21552
	v_mul_f32_e32 v140, s47, v140                              // 0000000059A0: 0B19182F
	v_mul_f32_e32 v141, s47, v141                              // 0000000059A4: 0B1B1A2F
	v_mul_f32_e32 v142, s47, v142                              // 0000000059A8: 0B1D1C2F
	v_mul_f32_e32 v143, s47, v143                              // 0000000059AC: 0B1F1E2F
	v_mfma_f32_16x16x16_bf16 v[56:59], a[84:85], a[12:13], v[56:59]// 0000000059B0: D3E10038 1CE21954
	ds_write_b64 v20, v[136:137] offset:29440                  // 0000000059B8: D89A7300 00008814
	ds_write_b64 v20, v[138:139] offset:29952                  // 0000000059C0: D89A7500 00008A14
	v_mfma_f32_16x16x16_bf16 v[56:59], a[86:87], a[14:15], v[56:59]// 0000000059C8: D3E10038 1CE21D56
	ds_write_b64 v20, v[140:141] offset:30464                  // 0000000059D0: D89A7700 00008C14
	ds_write_b64 v20, v[142:143] offset:30976                  // 0000000059D8: D89A7900 00008E14
	v_mfma_f32_16x16x16_bf16 v[56:59], a[88:89], a[16:17], v[56:59]// 0000000059E0: D3E10038 1CE22158
	ds_read_b128 v[104:107], v12 offset:19584                  // 0000000059E8: D9FE4C80 6800000C
	v_mfma_f32_16x16x16_bf16 v[56:59], a[90:91], a[18:19], v[56:59]// 0000000059F0: D3E10038 1CE2255A
	ds_read_b128 v[108:111], v12 offset:20096                  // 0000000059F8: D9FE4E80 6C00000C
	v_mfma_f32_16x16x16_bf16 v[56:59], a[92:93], a[20:21], v[56:59]// 000000005A00: D3E10038 1CE2295C
	ds_read_b128 v[112:115], v12 offset:21760                  // 000000005A08: D9FE5500 7000000C
	ds_read_b128 v[116:119], v12 offset:22272                  // 000000005A10: D9FE5700 7400000C
	v_mfma_f32_16x16x16_bf16 v[56:59], a[94:95], a[22:23], v[56:59]// 000000005A18: D3E10038 1CE22D5E
	ds_read_b128 v[120:123], v12 offset:23936                  // 000000005A20: D9FE5D80 7800000C
	ds_read_b128 v[124:127], v12 offset:24448                  // 000000005A28: D9FE5F80 7C00000C
	s_cmp_lt_i32 s74, 4                                        // 000000005A30: BF04844A
	s_cbranch_scc0 label_06B8                                  // 000000005A34: BF84002A
	s_mov_b32 s60, 0xffe0fffe                                  // 000000005A38: BEBC00FF FFE0FFFE
	s_mov_b32 s61, 0xe000fe00                                  // 000000005A40: BEBD00FF E000FE00
	s_nop 0                                                    // 000000005A48: BF800000
	s_cmp_lt_i32 s74, s46                                      // 000000005A4C: BF042E4A
	s_cbranch_scc1 label_06B3                                  // 000000005A50: BF85001E
	s_cmp_eq_i32 s74, s46                                      // 000000005A54: BF002E4A
	s_cbranch_scc1 label_0698                                  // 000000005A58: BF850001
	s_branch label_06B8                                        // 000000005A5C: BF820020

0000000000005a60 <label_0698>:
	v_cndmask_b32_e64 v56, v56, v159, s[60:61]                 // 000000005A60: D1000038 00F33F38
	s_lshl_b32 s60, s60, 1                                     // 000000005A68: 8E3C813C
	s_lshl_b32 s61, s61, 1                                     // 000000005A6C: 8E3D813D
	s_and_b32 s60, 0xfffeffff, s60                             // 000000005A70: 863C3CFF FFFEFFFF
	s_and_b32 s61, 0xfffeffff, s61                             // 000000005A78: 863D3DFF FFFEFFFF
	v_cndmask_b32_e64 v57, v57, v159, s[60:61]                 // 000000005A80: D1000039 00F33F39
	s_lshl_b32 s60, s60, 1                                     // 000000005A88: 8E3C813C
	s_lshl_b32 s61, s61, 1                                     // 000000005A8C: 8E3D813D
	s_and_b32 s60, 0xfffeffff, s60                             // 000000005A90: 863C3CFF FFFEFFFF
	s_and_b32 s61, 0xfffeffff, s61                             // 000000005A98: 863D3DFF FFFEFFFF
	v_cndmask_b32_e64 v58, v58, v159, s[60:61]                 // 000000005AA0: D100003A 00F33F3A
	s_lshl_b32 s60, s60, 1                                     // 000000005AA8: 8E3C813C
	s_lshl_b32 s61, s61, 1                                     // 000000005AAC: 8E3D813D
	s_and_b32 s60, 0xfffeffff, s60                             // 000000005AB0: 863C3CFF FFFEFFFF
	s_and_b32 s61, 0xfffeffff, s61                             // 000000005AB8: 863D3DFF FFFEFFFF
	v_cndmask_b32_e64 v59, v59, v159, s[60:61]                 // 000000005AC0: D100003B 00F33F3B
	s_branch label_06B8                                        // 000000005AC8: BF820005

0000000000005acc <label_06B3>:
	v_mov_b32_e32 v56, v159                                    // 000000005ACC: 7E70039F
	v_mov_b32_e32 v57, v159                                    // 000000005AD0: 7E72039F
	v_mov_b32_e32 v58, v159                                    // 000000005AD4: 7E74039F
	v_mov_b32_e32 v59, v159                                    // 000000005AD8: 7E76039F
	s_branch label_06B8                                        // 000000005ADC: BF820000

0000000000005ae0 <label_06B8>:
	s_cmp_lt_i32 s100, 64                                      // 000000005AE0: BF04C064
	s_cbranch_scc0 label_06C9                                  // 000000005AE4: BF84000F
	v_and_b32_e32 v28, 15, v0                                  // 000000005AE8: 2638008F
	v_mul_i32_i24_e64 v29, s46, 16                             // 000000005AEC: D106001D 0001202E
	v_add_u32_e32 v28, v28, v29                                // 000000005AF4: 68383B1C
	v_cmp_lt_u32_e64 s[60:61], v28, s100                       // 000000005AF8: D0C9003C 0000C91C
	s_nop 1                                                    // 000000005B00: BF800001
	v_cndmask_b32_e64 v56, v159, v56, s[60:61]                 // 000000005B04: D1000038 00F2719F
	v_cndmask_b32_e64 v57, v159, v57, s[60:61]                 // 000000005B0C: D1000039 00F2739F
	v_cndmask_b32_e64 v58, v159, v58, s[60:61]                 // 000000005B14: D100003A 00F2759F
	v_cndmask_b32_e64 v59, v159, v59, s[60:61]                 // 000000005B1C: D100003B 00F2779F

0000000000005b24 <label_06C9>:
	s_addk_i32 s74, 0x1                                        // 000000005B24: B74A0001
	s_waitcnt lgkmcnt(6)                                       // 000000005B28: BF8CC67F
	s_barrier                                                  // 000000005B2C: BF8A0000
	v_mfma_f32_16x16x16_bf16 v[64:67], v[80:81], a[48:49], 0   // 000000005B30: D3E10040 12026150
	ds_read_b128 a[72:75], v12 offset:6528                     // 000000005B38: DBFE1980 4800000C
	ds_read_b128 a[76:79], v12 offset:7040                     // 000000005B40: DBFE1B80 4C00000C
	ds_write_b32 v11, v38                                      // 000000005B48: D81A0000 0000260B
	ds_write_b32 v11, v39 offset:1056                          // 000000005B50: D81A0420 0000270B
	v_mfma_f32_16x16x16_bf16 v[64:67], v[82:83], a[50:51], v[64:67]// 000000005B58: D3E10040 15026552
	v_fma_f32 v56, v56, s57, -v128                             // 000000005B60: D1CB0038 86007338
	v_fma_f32 v57, v57, s57, -v129                             // 000000005B68: D1CB0039 86047339
	v_fma_f32 v58, v58, s57, -v130                             // 000000005B70: D1CB003A 8608733A
	v_fma_f32 v59, v59, s57, -v131                             // 000000005B78: D1CB003B 860C733B
	v_mfma_f32_16x16x16_bf16 v[64:67], v[84:85], a[52:53], v[64:67]// 000000005B80: D3E10040 15026954
	ds_read_b128 a[80:83], v12 offset:8704                     // 000000005B88: DBFE2200 5000000C
	ds_read_b128 a[84:87], v12 offset:9216                     // 000000005B90: DBFE2400 5400000C
	ds_write_b32 v11, v40 offset:2176                          // 000000005B98: D81A0880 0000280B
	v_mfma_f32_16x16x16_bf16 v[64:67], v[86:87], a[54:55], v[64:67]// 000000005BA0: D3E10040 15026D56
	v_exp_f32_e32 v56, v56                                     // 000000005BA8: 7E704138
	v_mfma_f32_16x16x16_bf16 v[64:67], v[88:89], a[56:57], v[64:67]// 000000005BAC: D3E10040 15027158
	ds_read_b128 a[88:91], v12 offset:10880                    // 000000005BB4: DBFE2A80 5800000C
	ds_read_b128 a[92:95], v12 offset:11392                    // 000000005BBC: DBFE2C80 5C00000C
	ds_write_b32 v11, v41 offset:3232                          // 000000005BC4: D81A0CA0 0000290B
	v_mfma_f32_16x16x16_bf16 v[64:67], v[90:91], a[58:59], v[64:67]// 000000005BCC: D3E10040 1502755A
	v_exp_f32_e32 v57, v57                                     // 000000005BD4: 7E724139
	v_mfma_f32_16x16x16_bf16 v[64:67], v[92:93], a[60:61], v[64:67]// 000000005BD8: D3E10040 1502795C
	ds_read_b64 v[144:145], v19 offset:28416                   // 000000005BE0: D8EC6F00 90000013
	ds_read_b64 v[146:147], v19 offset:30464                   // 000000005BE8: D8EC7700 92000013
	ds_read_b64 v[148:149], v19 offset:32512                   // 000000005BF0: D8EC7F00 94000013
	ds_write_b32 v11, v42 offset:4352                          // 000000005BF8: D81A1100 00002A0B
	v_mfma_f32_16x16x16_bf16 v[64:67], v[94:95], a[62:63], v[64:67]// 000000005C00: D3E10040 15027D5E
	v_exp_f32_e32 v58, v58                                     // 000000005C08: 7E74413A
	v_mfma_f32_16x16x16_bf16 v[64:67], v[96:97], a[64:65], v[64:67]// 000000005C0C: D3E10040 15028160
	ds_read_b64 v[150:151], v19 offset:34560                   // 000000005C14: D8EC8700 96000013
	ds_read_b64 v[152:153], v19 offset:36608                   // 000000005C1C: D8EC8F00 98000013
	ds_read_b64 v[154:155], v19 offset:38656                   // 000000005C24: D8EC9700 9A000013
	ds_write_b32 v11, v43 offset:5408                          // 000000005C2C: D81A1520 00002B0B
	v_mfma_f32_16x16x16_bf16 v[64:67], v[98:99], a[66:67], v[64:67]// 000000005C34: D3E10040 15028562
	v_exp_f32_e32 v59, v59                                     // 000000005C3C: 7E76413B
	v_mfma_f32_16x16x16_bf16 v[64:67], v[100:101], a[68:69], v[64:67]// 000000005C40: D3E10040 15028964
	v_cmp_u_f32_e64 s[78:79], v56, v56                         // 000000005C48: D048004E 00027138
	v_bfe_u32 v208, v56, 16, 1                                 // 000000005C50: D1C800D0 02052138
	v_add3_u32 v208, v56, v208, v211                           // 000000005C58: D1FF00D0 074FA138
	v_cndmask_b32_e64 v28, v208, v210, s[78:79]                // 000000005C60: D100001C 013BA5D0
	v_lshrrev_b32_e32 v28, 16, v28                             // 000000005C68: 20383890
	v_cmp_u_f32_e64 s[78:79], v57, v57                         // 000000005C6C: D048004E 00027339
	v_bfe_u32 v208, v57, 16, 1                                 // 000000005C74: D1C800D0 02052139
	v_add3_u32 v208, v57, v208, v211                           // 000000005C7C: D1FF00D0 074FA139
	v_cndmask_b32_e64 v29, v208, v210, s[78:79]                // 000000005C84: D100001D 013BA5D0
	v_and_or_b32 v156, v29, v209, v28                          // 000000005C8C: D201009C 0473A31D
	v_mfma_f32_16x16x16_bf16 v[64:67], v[102:103], a[70:71], v[64:67]// 000000005C94: D3E10040 15028D66
	v_cmp_u_f32_e64 s[78:79], v58, v58                         // 000000005C9C: D048004E 0002753A
	v_bfe_u32 v208, v58, 16, 1                                 // 000000005CA4: D1C800D0 0205213A
	v_add3_u32 v208, v58, v208, v211                           // 000000005CAC: D1FF00D0 074FA13A
	v_cndmask_b32_e64 v28, v208, v210, s[78:79]                // 000000005CB4: D100001C 013BA5D0
	v_lshrrev_b32_e32 v28, 16, v28                             // 000000005CBC: 20383890
	v_cmp_u_f32_e64 s[78:79], v59, v59                         // 000000005CC0: D048004E 0002773B
	v_bfe_u32 v208, v59, 16, 1                                 // 000000005CC8: D1C800D0 0205213B
	v_add3_u32 v208, v59, v208, v211                           // 000000005CD0: D1FF00D0 074FA13B
	v_cndmask_b32_e64 v29, v208, v210, s[78:79]                // 000000005CD8: D100001D 013BA5D0
	v_and_or_b32 v157, v29, v209, v28                          // 000000005CE0: D201009D 0473A31D
	v_add_u32_e32 v7, s66, v7                                  // 000000005CE8: 680E0E42
	v_add_u32_e32 v8, s66, v8                                  // 000000005CEC: 68101042
	s_waitcnt lgkmcnt(0)                                       // 000000005CF0: BF8CC07F
	s_barrier                                                  // 000000005CF4: BF8A0000
	v_mfma_f32_16x16x16_bf16 v[160:163], v[104:105], v[156:157], v[160:163]// 000000005CF8: D3E100A0 06833968
	v_subrev_f32_dpp v64, v158, v64 quad_perm:[0,0,0,0] row_mask:0xf bank_mask:0xf// 000000005D00: 068080FA FF00009E
	v_subrev_f32_dpp v65, v158, v65 quad_perm:[1,1,1,1] row_mask:0xf bank_mask:0xf// 000000005D08: 068282FA FF00559E
	buffer_atomic_add_f32 v144, v7, s[32:35], 0 offen          // 000000005D10: E1341000 80089007
	v_mfma_f32_16x16x16_bf16 v[164:167], v[106:107], v[156:157], v[164:167]// 000000005D18: D3E100A4 0693396A
	v_subrev_f32_dpp v66, v158, v66 quad_perm:[2,2,2,2] row_mask:0xf bank_mask:0xf// 000000005D20: 068484FA FF00AA9E
	v_subrev_f32_dpp v67, v158, v67 quad_perm:[3,3,3,3] row_mask:0xf bank_mask:0xf// 000000005D28: 068686FA FF00FF9E
	buffer_atomic_add_f32 v145, v8, s[32:35], 0 offen          // 000000005D30: E1341000 80089108
	v_mfma_f32_16x16x16_bf16 v[168:171], v[108:109], v[156:157], v[168:171]// 000000005D38: D3E100A8 06A3396C
	v_mul_f32_e32 v64, v56, v64                                // 000000005D40: 0A808138
	v_mul_f32_e32 v65, v57, v65                                // 000000005D44: 0A828339
	buffer_atomic_add_f32 v146, v7, s[32:35], 0 offen offset:128// 000000005D48: E1341080 80089207
	v_mfma_f32_16x16x16_bf16 v[172:175], v[110:111], v[156:157], v[172:175]// 000000005D50: D3E100AC 06B3396E
	v_mul_f32_e32 v66, v58, v66                                // 000000005D58: 0A84853A
	v_mul_f32_e32 v67, v59, v67                                // 000000005D5C: 0A86873B
	buffer_atomic_add_f32 v147, v8, s[32:35], 0 offen offset:128// 000000005D60: E1341080 80089308
	v_mfma_f32_16x16x16_bf16 v[176:179], v[112:113], v[156:157], v[176:179]// 000000005D68: D3E100B0 06C33970
	v_cmp_u_f32_e64 s[78:79], v64, v64                         // 000000005D70: D048004E 00028140
	v_bfe_u32 v208, v64, 16, 1                                 // 000000005D78: D1C800D0 02052140
	v_add3_u32 v208, v64, v208, v211                           // 000000005D80: D1FF00D0 074FA140
	v_cndmask_b32_e64 v28, v208, v210, s[78:79]                // 000000005D88: D100001C 013BA5D0
	v_lshrrev_b32_e32 v28, 16, v28                             // 000000005D90: 20383890
	v_cmp_u_f32_e64 s[78:79], v65, v65                         // 000000005D94: D048004E 00028341
	v_bfe_u32 v208, v65, 16, 1                                 // 000000005D9C: D1C800D0 02052141
	v_add3_u32 v208, v65, v208, v211                           // 000000005DA4: D1FF00D0 074FA141
	v_cndmask_b32_e64 v29, v208, v210, s[78:79]                // 000000005DAC: D100001D 013BA5D0
	v_and_or_b32 v64, v29, v209, v28                           // 000000005DB4: D2010040 0473A31D
	v_mfma_f32_16x16x16_bf16 v[180:183], v[114:115], v[156:157], v[180:183]// 000000005DBC: D3E100B4 06D33972
	v_cmp_u_f32_e64 s[78:79], v66, v66                         // 000000005DC4: D048004E 00028542
	v_bfe_u32 v208, v66, 16, 1                                 // 000000005DCC: D1C800D0 02052142
	v_add3_u32 v208, v66, v208, v211                           // 000000005DD4: D1FF00D0 074FA142
	v_cndmask_b32_e64 v28, v208, v210, s[78:79]                // 000000005DDC: D100001C 013BA5D0
	v_lshrrev_b32_e32 v28, 16, v28                             // 000000005DE4: 20383890
	v_cmp_u_f32_e64 s[78:79], v67, v67                         // 000000005DE8: D048004E 00028743
	v_bfe_u32 v208, v67, 16, 1                                 // 000000005DF0: D1C800D0 02052143
	v_add3_u32 v208, v67, v208, v211                           // 000000005DF8: D1FF00D0 074FA143
	v_cndmask_b32_e64 v29, v208, v210, s[78:79]                // 000000005E00: D100001D 013BA5D0
	v_and_or_b32 v65, v29, v209, v28                           // 000000005E08: D2010041 0473A31D
	v_mfma_f32_16x16x16_bf16 v[184:187], v[116:117], v[156:157], v[184:187]// 000000005E10: D3E100B8 06E33974
	v_mov_b32_dpp v16, v64 quad_perm:[1,0,3,2] row_mask:0xf bank_mask:0xf// 000000005E18: 7E2002FA FF00B140
	v_perm_b32 v56, v16, v64, v15                              // 000000005E20: D1ED0038 043E8110
	buffer_atomic_add_f32 v148, v7, s[32:35], 0 offen offset:256// 000000005E28: E1341100 80089407
	v_mfma_f32_16x16x16_bf16 v[188:191], v[118:119], v[156:157], v[188:191]// 000000005E30: D3E100BC 06F33976
	v_mov_b32_dpp v16, v65 quad_perm:[1,0,3,2] row_mask:0xf bank_mask:0xf// 000000005E38: 7E2002FA FF00B141
	v_perm_b32 v57, v16, v65, v15                              // 000000005E40: D1ED0039 043E8310
	buffer_atomic_add_f32 v149, v8, s[32:35], 0 offen offset:256// 000000005E48: E1341100 80089508
	v_mfma_f32_16x16x16_bf16 v[192:195], v[120:121], v[156:157], v[192:195]// 000000005E50: D3E100C0 07033978
	ds_write_b32 v13, v68 offset:6528                          // 000000005E58: D81A1980 0000440D
	ds_write_b32 v13, v69 offset:7584                          // 000000005E60: D81A1DA0 0000450D
	v_mfma_f32_16x16x16_bf16 v[196:199], v[122:123], v[156:157], v[196:199]// 000000005E68: D3E100C4 0713397A
	ds_write_b32 v18, v56 offset:26112                         // 000000005E70: D81A6600 00003812
	ds_write_b32 v18, v57 offset:26656                         // 000000005E78: D81A6820 00003912
	v_mfma_f32_16x16x16_bf16 v[200:203], v[124:125], v[156:157], v[200:203]// 000000005E80: D3E100C8 0723397C
	ds_write_b32 v13, v70 offset:8704                          // 000000005E88: D81A2200 0000460D
	ds_write_b32 v13, v71 offset:9760                          // 000000005E90: D81A2620 0000470D
	v_mfma_f32_16x16x16_bf16 v[204:207], v[126:127], v[156:157], v[204:207]// 000000005E98: D3E100CC 0733397E
	ds_write_b32 v13, v72 offset:10880                         // 000000005EA0: D81A2A80 0000480D
	ds_write_b32 v13, v73 offset:11936                         // 000000005EA8: D81A2EA0 0000490D
	s_barrier                                                  // 000000005EB0: BF8A0000
	v_mfma_f32_16x16x16_bf16 a[96:99], a[72:73], v[64:65], a[96:99]// 000000005EB4: D3E18060 0D828148
	buffer_atomic_add_f32 v150, v7, s[32:35], 0 offen offset:384// 000000005EBC: E1341180 80089607
	buffer_atomic_add_f32 v151, v8, s[32:35], 0 offen offset:384// 000000005EC4: E1341180 80089708
	v_mfma_f32_16x16x16_bf16 a[100:103], a[74:75], v[64:65], a[100:103]// 000000005ECC: D3E18064 0D92814A
	ds_read_b32 v128, v21 offset:41216                         // 000000005ED4: D86CA100 80000015
	ds_read_b32 v158, v21 offset:41472                         // 000000005EDC: D86CA200 9E000015
	v_mfma_f32_16x16x16_bf16 a[104:107], a[76:77], v[64:65], a[104:107]// 000000005EE4: D3E18068 0DA2814C
	s_waitcnt lgkmcnt(6)                                       // 000000005EEC: BF8CC67F
	s_barrier                                                  // 000000005EF0: BF8A0000
	v_mfma_f32_16x16x16_bf16 a[108:111], a[78:79], v[64:65], a[108:111]// 000000005EF4: D3E1806C 0DB2814E
	ds_read_b128 v[56:59], v17 offset:26112                    // 000000005EFC: D9FE6600 38000011
	v_mfma_f32_16x16x16_bf16 a[112:115], a[80:81], v[64:65], a[112:115]// 000000005F04: D3E18070 0DC28150
	s_mov_b64 exec, s[94:95]                                   // 000000005F0C: BEFE015E
	buffer_atomic_add_f32 v152, v7, s[32:35], 0 offen offset:512// 000000005F10: E1341200 80089807
	s_mov_b32 exec_lo, -1                                      // 000000005F18: BEFE00C1
	s_mov_b32 exec_hi, -1                                      // 000000005F1C: BEFF00C1
	v_mfma_f32_16x16x16_bf16 a[116:119], a[82:83], v[64:65], a[116:119]// 000000005F20: D3E18074 0DD28152
	ds_read_b128 v[60:63], v17 offset:27264                    // 000000005F28: D9FE6A80 3C000011
	v_mfma_f32_16x16x16_bf16 a[120:123], a[84:85], v[64:65], a[120:123]// 000000005F30: D3E18078 0DE28154
	s_mov_b64 exec, s[94:95]                                   // 000000005F38: BEFE015E
	buffer_atomic_add_f32 v153, v8, s[32:35], 0 offen offset:512// 000000005F3C: E1341200 80089908
	s_mov_b32 exec_lo, -1                                      // 000000005F44: BEFE00C1
	s_mov_b32 exec_hi, -1                                      // 000000005F48: BEFF00C1
	v_mfma_f32_16x16x16_bf16 a[124:127], a[86:87], v[64:65], a[124:127]// 000000005F4C: D3E1807C 0DF28156
	ds_write_b32 v13, v74 offset:19584                         // 000000005F54: D81A4C80 00004A0D
	ds_write_b32 v13, v75 offset:20640                         // 000000005F5C: D81A50A0 00004B0D
	v_mfma_f32_16x16x16_bf16 a[128:131], a[88:89], v[64:65], a[128:131]// 000000005F64: D3E18080 0E028158
	s_mov_b64 exec, s[96:97]                                   // 000000005F6C: BEFE0160
	buffer_atomic_add_f32 v154, v7, s[32:35], 0 offen offset:640// 000000005F70: E1341280 80089A07
	s_mov_b32 exec_lo, -1                                      // 000000005F78: BEFE00C1
	s_mov_b32 exec_hi, -1                                      // 000000005F7C: BEFF00C1
	v_mfma_f32_16x16x16_bf16 a[132:135], a[90:91], v[64:65], a[132:135]// 000000005F80: D3E18084 0E12815A
	ds_write_b32 v13, v76 offset:21760                         // 000000005F88: D81A5500 00004C0D
	ds_write_b32 v13, v77 offset:22816                         // 000000005F90: D81A5920 00004D0D
	v_mfma_f32_16x16x16_bf16 a[136:139], a[92:93], v[64:65], a[136:139]// 000000005F98: D3E18088 0E22815C
	s_mov_b64 exec, s[96:97]                                   // 000000005FA0: BEFE0160
	buffer_atomic_add_f32 v155, v8, s[32:35], 0 offen offset:640// 000000005FA4: E1341280 80089B08
	s_mov_b32 exec_lo, -1                                      // 000000005FAC: BEFE00C1
	s_mov_b32 exec_hi, -1                                      // 000000005FB0: BEFF00C1
	v_mfma_f32_16x16x16_bf16 a[140:143], a[94:95], v[64:65], a[140:143]// 000000005FB4: D3E1808C 0E32815E
	ds_write_b32 v13, v78 offset:23936                         // 000000005FBC: D81A5D80 00004E0D
	ds_write_b32 v13, v79 offset:24992                         // 000000005FC4: D81A61A0 00004F0D
	s_waitcnt vmcnt(12) lgkmcnt(6)                             // 000000005FCC: BF8C067C
	s_barrier                                                  // 000000005FD0: BF8A0000
	v_mfma_f32_16x16x16_bf16 v[132:135], v[56:57], a[24:25], 0 // 000000005FD4: D3E10084 12023138
	v_mul_f32_e32 v128, s48, v128                              // 000000005FDC: 0B010030
	v_perm_b32 v68, v33, v32, s63                              // 000000005FE0: D1ED0044 00FE4121
	v_perm_b32 v69, v33, v32, s64                              // 000000005FE8: D1ED0045 01024121
	v_perm_b32 v70, v35, v34, s63                              // 000000005FF0: D1ED0046 00FE4523
	v_mfma_f32_16x16x16_bf16 v[132:135], v[58:59], a[30:31], v[132:135]// 000000005FF8: D3E10084 16123D3A
	ds_read_b128 a[72:75], v10                                 // 000000006000: DBFE0000 4800000A
	ds_read_b128 a[76:79], v10 offset:512                      // 000000006008: DBFE0200 4C00000A
	ds_read_b128 a[80:83], v10 offset:2176                     // 000000006010: DBFE0880 5000000A
	buffer_load_dword v38, v1, s[8:11], 0 idxen                // 000000006018: E0502000 80022601
	buffer_load_dword v39, v2, s[8:11], 0 idxen                // 000000006020: E0502000 80022702
	v_mfma_f32_16x16x16_bf16 v[132:135], v[60:61], a[36:37], v[132:135]// 000000006028: D3E10084 1612493C
	v_perm_b32 v71, v35, v34, s64                              // 000000006030: D1ED0047 01024523
	v_perm_b32 v72, v37, v36, s63                              // 000000006038: D1ED0048 00FE4925
	v_perm_b32 v73, v37, v36, s64                              // 000000006040: D1ED0049 01024925
	v_mfma_f32_16x16x16_bf16 v[132:135], v[62:63], a[42:43], v[132:135]// 000000006048: D3E10084 1612553E
	ds_read_b128 a[84:87], v10 offset:2688                     // 000000006050: DBFE0A80 5400000A
	ds_read_b128 a[88:91], v10 offset:4352                     // 000000006058: DBFE1100 5800000A
	ds_read_b128 a[92:95], v10 offset:4864                     // 000000006060: DBFE1300 5C00000A
	buffer_load_dword v40, v1, s[8:11], 0 idxen offset:128     // 000000006068: E0502080 80022801
	buffer_load_dword v41, v2, s[8:11], 0 idxen offset:128     // 000000006070: E0502080 80022902
	v_mfma_f32_16x16x16_bf16 v[136:139], v[56:57], a[26:27], 0 // 000000006078: D3E10088 12023538
	v_perm_b32 v74, v45, v44, s63                              // 000000006080: D1ED004A 00FE592D
	v_perm_b32 v75, v45, v44, s64                              // 000000006088: D1ED004B 0102592D
	v_perm_b32 v76, v47, v46, s63                              // 000000006090: D1ED004C 00FE5D2F
	v_mov_b32_dpp v131, v128 quad_perm:[3,3,3,3] row_mask:0xf bank_mask:0xf// 000000006098: 7F0602FA FF00FF80
	v_mov_b32_dpp v130, v128 quad_perm:[2,2,2,2] row_mask:0xf bank_mask:0xf// 0000000060A0: 7F0402FA FF00AA80
	v_mfma_f32_16x16x16_bf16 v[136:139], v[58:59], a[32:33], v[136:139]// 0000000060A8: D3E10088 1622413A
	ds_read_b128 v[80:83], v10 offset:13056                    // 0000000060B0: D9FE3300 5000000A
	ds_read_b128 v[84:87], v10 offset:13568                    // 0000000060B8: D9FE3500 5400000A
	ds_read_b128 v[88:91], v10 offset:15232                    // 0000000060C0: D9FE3B80 5800000A
	buffer_load_dword v50, v212, s[20:23], 0 idxen             // 0000000060C8: E0502000 800532D4
	buffer_load_dword v51, v213, s[20:23], 0 idxen             // 0000000060D0: E0502000 800533D5
	v_mfma_f32_16x16x16_bf16 v[136:139], v[60:61], a[38:39], v[136:139]// 0000000060D8: D3E10088 16224D3C
	v_perm_b32 v77, v47, v46, s64                              // 0000000060E0: D1ED004D 01025D2F
	v_perm_b32 v78, v49, v48, s63                              // 0000000060E8: D1ED004E 00FE6131
	v_perm_b32 v79, v49, v48, s64                              // 0000000060F0: D1ED004F 01026131
	v_mov_b32_dpp v129, v128 quad_perm:[1,1,1,1] row_mask:0xf bank_mask:0xf// 0000000060F8: 7F0202FA FF005580
	v_mov_b32_dpp v128, v128 quad_perm:[0,0,0,0] row_mask:0xf bank_mask:0xf// 000000006100: 7F0002FA FF000080
	v_mfma_f32_16x16x16_bf16 v[136:139], v[62:63], a[44:45], v[136:139]// 000000006108: D3E10088 1622593E
	ds_read_b128 v[92:95], v10 offset:15744                    // 000000006110: D9FE3D80 5C00000A
	ds_read_b128 v[96:99], v10 offset:17408                    // 000000006118: D9FE4400 6000000A
	ds_read_b128 v[100:103], v10 offset:17920                  // 000000006120: D9FE4600 6400000A
	buffer_load_dword v52, v212, s[20:23], 0 idxen offset:128  // 000000006128: E0502080 800534D4
	buffer_load_dword v53, v213, s[20:23], 0 idxen offset:128  // 000000006130: E0502080 800535D5
	v_mfma_f32_16x16x16_bf16 v[140:143], v[56:57], a[28:29], 0 // 000000006138: D3E1008C 12023938
	s_add_u32 s60, 64, s59                                     // 000000006140: 803C3BC0
	s_cmp_lt_u32 s60, s58                                      // 000000006144: BF0A3A3C
	s_cselect_b32 s68, s68, 0                                  // 000000006148: 85448044
	s_cselect_b32 s99, s99, 0                                  // 00000000614C: 85638063
	s_cselect_b32 s69, s69, 0                                  // 000000006150: 85458045
	v_mfma_f32_16x16x16_bf16 v[140:143], v[58:59], a[34:35], v[140:143]// 000000006154: D3E1008C 1632453A
	buffer_load_dword v9, s[24:27], 0 idxen lds                // 00000000615C: E0512000 80060009
	v_mov_b32_e32 v42, 0                                       // 000000006164: 7E540280
	s_mov_b64 exec, s[90:91]                                   // 000000006168: BEFE015A
	buffer_load_dword v42, v1, s[8:11], 0 idxen offset:256     // 00000000616C: E0502100 80022A01
	s_mov_b32 exec_lo, -1                                      // 000000006174: BEFE00C1
	s_mov_b32 exec_hi, -1                                      // 000000006178: BEFF00C1
	v_mov_b32_e32 v43, 0                                       // 00000000617C: 7E560280
	s_mov_b64 exec, s[90:91]                                   // 000000006180: BEFE015A
	buffer_load_dword v43, v2, s[8:11], 0 idxen offset:256     // 000000006184: E0502100 80022B02
	s_mov_b32 exec_lo, -1                                      // 00000000618C: BEFE00C1
	s_mov_b32 exec_hi, -1                                      // 000000006190: BEFF00C1
	v_mfma_f32_16x16x16_bf16 v[140:143], v[60:61], a[40:41], v[140:143]// 000000006194: D3E1008C 1632513C
	v_mov_b32_e32 v54, 0                                       // 00000000619C: 7E6C0280
	s_mov_b64 exec, s[90:91]                                   // 0000000061A0: BEFE015A
	buffer_load_dword v54, v212, s[20:23], 0 idxen offset:256  // 0000000061A4: E0502100 800536D4
	s_mov_b32 exec_lo, -1                                      // 0000000061AC: BEFE00C1
	s_mov_b32 exec_hi, -1                                      // 0000000061B0: BEFF00C1
	v_mov_b32_e32 v55, 0                                       // 0000000061B4: 7E6E0280
	s_mov_b64 exec, s[90:91]                                   // 0000000061B8: BEFE015A
	buffer_load_dword v55, v213, s[20:23], 0 idxen offset:256  // 0000000061BC: E0502100 800537D5
	s_mov_b32 exec_lo, -1                                      // 0000000061C4: BEFE00C1
	s_mov_b32 exec_hi, -1                                      // 0000000061C8: BEFF00C1
	v_add_u32_e32 v1, s68, v1                                  // 0000000061CC: 68020244
	v_add_u32_e32 v2, s68, v2                                  // 0000000061D0: 68040444
	v_add_u32_e32 v212, s99, v212                              // 0000000061D4: 69A9A863
	v_add_u32_e32 v213, s99, v213                              // 0000000061D8: 69ABAA63
	s_mov_b32 m0, s80                                          // 0000000061DC: BEFC0050
	v_add_u32_e32 v9, s69, v9                                  // 0000000061E0: 68121245
	v_mfma_f32_16x16x16_bf16 v[140:143], v[62:63], a[46:47], v[140:143]// 0000000061E4: D3E1008C 16325D3E
	s_cmp_ge_u32 s59, s73                                      // 0000000061EC: BF09493B
	s_cselect_b32 s66, s67, s66                                // 0000000061F0: 85424243
	s_addk_i32 s59, 0x10                                       // 0000000061F4: B73B0010
	s_nop 0                                                    // 0000000061F8: BF800000
	s_cmp_lt_i32 s59, s58                                      // 0000000061FC: BF043A3B
	s_cbranch_scc0 label_0AC1                                  // 000000006200: BF840240
	s_waitcnt lgkmcnt(0)                                       // 000000006204: BF8CC07F
	s_barrier                                                  // 000000006208: BF8A0000
	v_mfma_f32_16x16x16_bf16 v[56:59], a[72:73], a[0:1], 0     // 00000000620C: D3E10038 1A020148
	ds_write_b32 v11, v44 offset:13056                         // 000000006214: D81A3300 00002C0B
	ds_write_b32 v11, v45 offset:14112                         // 00000000621C: D81A3720 00002D0B
	ds_write_b32 v11, v46 offset:15232                         // 000000006224: D81A3B80 00002E0B
	v_mfma_f32_16x16x16_bf16 v[56:59], a[74:75], a[2:3], v[56:59]// 00000000622C: D3E10038 1CE2054A
	v_mul_f32_e32 v132, s47, v132                              // 000000006234: 0B09082F
	v_mul_f32_e32 v133, s47, v133                              // 000000006238: 0B0B0A2F
	v_mul_f32_e32 v134, s47, v134                              // 00000000623C: 0B0D0C2F
	v_mul_f32_e32 v135, s47, v135                              // 000000006240: 0B0F0E2F
	v_mfma_f32_16x16x16_bf16 v[56:59], a[76:77], a[4:5], v[56:59]// 000000006244: D3E10038 1CE2094C
	ds_write_b32 v11, v47 offset:16288                         // 00000000624C: D81A3FA0 00002F0B
	ds_write_b32 v11, v48 offset:17408                         // 000000006254: D81A4400 0000300B
	ds_write_b32 v11, v49 offset:18464                         // 00000000625C: D81A4820 0000310B
	v_mfma_f32_16x16x16_bf16 v[56:59], a[78:79], a[6:7], v[56:59]// 000000006264: D3E10038 1CE20D4E
	v_mul_f32_e32 v136, s47, v136                              // 00000000626C: 0B11102F
	v_mul_f32_e32 v137, s47, v137                              // 000000006270: 0B13122F
	v_mul_f32_e32 v138, s47, v138                              // 000000006274: 0B15142F
	v_mul_f32_e32 v139, s47, v139                              // 000000006278: 0B17162F
	v_mfma_f32_16x16x16_bf16 v[56:59], a[80:81], a[8:9], v[56:59]// 00000000627C: D3E10038 1CE21150
	ds_write_b64 v20, v[132:133] offset:28416                  // 000000006284: D89A6F00 00008414
	ds_write_b64 v20, v[134:135] offset:28928                  // 00000000628C: D89A7100 00008614
	v_mfma_f32_16x16x16_bf16 v[56:59], a[82:83], a[10:11], v[56:59]// 000000006294: D3E10038 1CE21552
	v_mul_f32_e32 v140, s47, v140                              // 00000000629C: 0B19182F
	v_mul_f32_e32 v141, s47, v141                              // 0000000062A0: 0B1B1A2F
	v_mul_f32_e32 v142, s47, v142                              // 0000000062A4: 0B1D1C2F
	v_mul_f32_e32 v143, s47, v143                              // 0000000062A8: 0B1F1E2F
	v_mfma_f32_16x16x16_bf16 v[56:59], a[84:85], a[12:13], v[56:59]// 0000000062AC: D3E10038 1CE21954
	ds_write_b64 v20, v[136:137] offset:29440                  // 0000000062B4: D89A7300 00008814
	ds_write_b64 v20, v[138:139] offset:29952                  // 0000000062BC: D89A7500 00008A14
	v_mfma_f32_16x16x16_bf16 v[56:59], a[86:87], a[14:15], v[56:59]// 0000000062C4: D3E10038 1CE21D56
	ds_write_b64 v20, v[140:141] offset:30464                  // 0000000062CC: D89A7700 00008C14
	ds_write_b64 v20, v[142:143] offset:30976                  // 0000000062D4: D89A7900 00008E14
	v_mfma_f32_16x16x16_bf16 v[56:59], a[88:89], a[16:17], v[56:59]// 0000000062DC: D3E10038 1CE22158
	ds_read_b128 v[104:107], v12 offset:19584                  // 0000000062E4: D9FE4C80 6800000C
	v_mfma_f32_16x16x16_bf16 v[56:59], a[90:91], a[18:19], v[56:59]// 0000000062EC: D3E10038 1CE2255A
	ds_read_b128 v[108:111], v12 offset:20096                  // 0000000062F4: D9FE4E80 6C00000C
	v_mfma_f32_16x16x16_bf16 v[56:59], a[92:93], a[20:21], v[56:59]// 0000000062FC: D3E10038 1CE2295C
	ds_read_b128 v[112:115], v12 offset:21760                  // 000000006304: D9FE5500 7000000C
	ds_read_b128 v[116:119], v12 offset:22272                  // 00000000630C: D9FE5700 7400000C
	v_mfma_f32_16x16x16_bf16 v[56:59], a[94:95], a[22:23], v[56:59]// 000000006314: D3E10038 1CE22D5E
	ds_read_b128 v[120:123], v12 offset:23936                  // 00000000631C: D9FE5D80 7800000C
	ds_read_b128 v[124:127], v12 offset:24448                  // 000000006324: D9FE5F80 7C00000C
	s_cmp_lt_i32 s74, 4                                        // 00000000632C: BF04844A
	s_cbranch_scc0 label_08F7                                  // 000000006330: BF84002A
	s_mov_b32 s60, 0xffe0fffe                                  // 000000006334: BEBC00FF FFE0FFFE
	s_mov_b32 s61, 0xe000fe00                                  // 00000000633C: BEBD00FF E000FE00
	s_nop 0                                                    // 000000006344: BF800000
	s_cmp_lt_i32 s74, s46                                      // 000000006348: BF042E4A
	s_cbranch_scc1 label_08F2                                  // 00000000634C: BF85001E
	s_cmp_eq_i32 s74, s46                                      // 000000006350: BF002E4A
	s_cbranch_scc1 label_08D7                                  // 000000006354: BF850001
	s_branch label_08F7                                        // 000000006358: BF820020

000000000000635c <label_08D7>:
	v_cndmask_b32_e64 v56, v56, v159, s[60:61]                 // 00000000635C: D1000038 00F33F38
	s_lshl_b32 s60, s60, 1                                     // 000000006364: 8E3C813C
	s_lshl_b32 s61, s61, 1                                     // 000000006368: 8E3D813D
	s_and_b32 s60, 0xfffeffff, s60                             // 00000000636C: 863C3CFF FFFEFFFF
	s_and_b32 s61, 0xfffeffff, s61                             // 000000006374: 863D3DFF FFFEFFFF
	v_cndmask_b32_e64 v57, v57, v159, s[60:61]                 // 00000000637C: D1000039 00F33F39
	s_lshl_b32 s60, s60, 1                                     // 000000006384: 8E3C813C
	s_lshl_b32 s61, s61, 1                                     // 000000006388: 8E3D813D
	s_and_b32 s60, 0xfffeffff, s60                             // 00000000638C: 863C3CFF FFFEFFFF
	s_and_b32 s61, 0xfffeffff, s61                             // 000000006394: 863D3DFF FFFEFFFF
	v_cndmask_b32_e64 v58, v58, v159, s[60:61]                 // 00000000639C: D100003A 00F33F3A
	s_lshl_b32 s60, s60, 1                                     // 0000000063A4: 8E3C813C
	s_lshl_b32 s61, s61, 1                                     // 0000000063A8: 8E3D813D
	s_and_b32 s60, 0xfffeffff, s60                             // 0000000063AC: 863C3CFF FFFEFFFF
	s_and_b32 s61, 0xfffeffff, s61                             // 0000000063B4: 863D3DFF FFFEFFFF
	v_cndmask_b32_e64 v59, v59, v159, s[60:61]                 // 0000000063BC: D100003B 00F33F3B
	s_branch label_08F7                                        // 0000000063C4: BF820005

00000000000063c8 <label_08F2>:
	v_mov_b32_e32 v56, v159                                    // 0000000063C8: 7E70039F
	v_mov_b32_e32 v57, v159                                    // 0000000063CC: 7E72039F
	v_mov_b32_e32 v58, v159                                    // 0000000063D0: 7E74039F
	v_mov_b32_e32 v59, v159                                    // 0000000063D4: 7E76039F
	s_branch label_08F7                                        // 0000000063D8: BF820000

00000000000063dc <label_08F7>:
	s_cmp_lt_i32 s100, 64                                      // 0000000063DC: BF04C064
	s_cbranch_scc0 label_0908                                  // 0000000063E0: BF84000F
	v_and_b32_e32 v28, 15, v0                                  // 0000000063E4: 2638008F
	v_mul_i32_i24_e64 v29, s46, 16                             // 0000000063E8: D106001D 0001202E
	v_add_u32_e32 v28, v28, v29                                // 0000000063F0: 68383B1C
	v_cmp_lt_u32_e64 s[60:61], v28, s100                       // 0000000063F4: D0C9003C 0000C91C
	s_nop 1                                                    // 0000000063FC: BF800001
	v_cndmask_b32_e64 v56, v159, v56, s[60:61]                 // 000000006400: D1000038 00F2719F
	v_cndmask_b32_e64 v57, v159, v57, s[60:61]                 // 000000006408: D1000039 00F2739F
	v_cndmask_b32_e64 v58, v159, v58, s[60:61]                 // 000000006410: D100003A 00F2759F
	v_cndmask_b32_e64 v59, v159, v59, s[60:61]                 // 000000006418: D100003B 00F2779F

0000000000006420 <label_0908>:
	s_addk_i32 s74, 0x1                                        // 000000006420: B74A0001
	s_waitcnt lgkmcnt(6)                                       // 000000006424: BF8CC67F
	s_barrier                                                  // 000000006428: BF8A0000
	v_mfma_f32_16x16x16_bf16 v[64:67], v[80:81], a[48:49], 0   // 00000000642C: D3E10040 12026150
	ds_read_b128 a[72:75], v12 offset:6528                     // 000000006434: DBFE1980 4800000C
	ds_read_b128 a[76:79], v12 offset:7040                     // 00000000643C: DBFE1B80 4C00000C
	ds_write_b32 v11, v32                                      // 000000006444: D81A0000 0000200B
	ds_write_b32 v11, v33 offset:1056                          // 00000000644C: D81A0420 0000210B
	v_mfma_f32_16x16x16_bf16 v[64:67], v[82:83], a[50:51], v[64:67]// 000000006454: D3E10040 15026552
	v_fma_f32 v56, v56, s57, -v128                             // 00000000645C: D1CB0038 86007338
	v_fma_f32 v57, v57, s57, -v129                             // 000000006464: D1CB0039 86047339
	v_fma_f32 v58, v58, s57, -v130                             // 00000000646C: D1CB003A 8608733A
	v_fma_f32 v59, v59, s57, -v131                             // 000000006474: D1CB003B 860C733B
	v_mfma_f32_16x16x16_bf16 v[64:67], v[84:85], a[52:53], v[64:67]// 00000000647C: D3E10040 15026954
	ds_read_b128 a[80:83], v12 offset:8704                     // 000000006484: DBFE2200 5000000C
	ds_read_b128 a[84:87], v12 offset:9216                     // 00000000648C: DBFE2400 5400000C
	ds_write_b32 v11, v34 offset:2176                          // 000000006494: D81A0880 0000220B
	v_mfma_f32_16x16x16_bf16 v[64:67], v[86:87], a[54:55], v[64:67]// 00000000649C: D3E10040 15026D56
	v_exp_f32_e32 v56, v56                                     // 0000000064A4: 7E704138
	v_mfma_f32_16x16x16_bf16 v[64:67], v[88:89], a[56:57], v[64:67]// 0000000064A8: D3E10040 15027158
	ds_read_b128 a[88:91], v12 offset:10880                    // 0000000064B0: DBFE2A80 5800000C
	ds_read_b128 a[92:95], v12 offset:11392                    // 0000000064B8: DBFE2C80 5C00000C
	ds_write_b32 v11, v35 offset:3232                          // 0000000064C0: D81A0CA0 0000230B
	v_mfma_f32_16x16x16_bf16 v[64:67], v[90:91], a[58:59], v[64:67]// 0000000064C8: D3E10040 1502755A
	v_exp_f32_e32 v57, v57                                     // 0000000064D0: 7E724139
	v_mfma_f32_16x16x16_bf16 v[64:67], v[92:93], a[60:61], v[64:67]// 0000000064D4: D3E10040 1502795C
	ds_read_b64 v[144:145], v19 offset:28416                   // 0000000064DC: D8EC6F00 90000013
	ds_read_b64 v[146:147], v19 offset:30464                   // 0000000064E4: D8EC7700 92000013
	ds_read_b64 v[148:149], v19 offset:32512                   // 0000000064EC: D8EC7F00 94000013
	ds_write_b32 v11, v36 offset:4352                          // 0000000064F4: D81A1100 0000240B
	v_mfma_f32_16x16x16_bf16 v[64:67], v[94:95], a[62:63], v[64:67]// 0000000064FC: D3E10040 15027D5E
	v_exp_f32_e32 v58, v58                                     // 000000006504: 7E74413A
	v_mfma_f32_16x16x16_bf16 v[64:67], v[96:97], a[64:65], v[64:67]// 000000006508: D3E10040 15028160
	ds_read_b64 v[150:151], v19 offset:34560                   // 000000006510: D8EC8700 96000013
	ds_read_b64 v[152:153], v19 offset:36608                   // 000000006518: D8EC8F00 98000013
	ds_read_b64 v[154:155], v19 offset:38656                   // 000000006520: D8EC9700 9A000013
	ds_write_b32 v11, v37 offset:5408                          // 000000006528: D81A1520 0000250B
	v_mfma_f32_16x16x16_bf16 v[64:67], v[98:99], a[66:67], v[64:67]// 000000006530: D3E10040 15028562
	v_exp_f32_e32 v59, v59                                     // 000000006538: 7E76413B
	v_mfma_f32_16x16x16_bf16 v[64:67], v[100:101], a[68:69], v[64:67]// 00000000653C: D3E10040 15028964
	v_cmp_u_f32_e64 s[78:79], v56, v56                         // 000000006544: D048004E 00027138
	v_bfe_u32 v208, v56, 16, 1                                 // 00000000654C: D1C800D0 02052138
	v_add3_u32 v208, v56, v208, v211                           // 000000006554: D1FF00D0 074FA138
	v_cndmask_b32_e64 v28, v208, v210, s[78:79]                // 00000000655C: D100001C 013BA5D0
	v_lshrrev_b32_e32 v28, 16, v28                             // 000000006564: 20383890
	v_cmp_u_f32_e64 s[78:79], v57, v57                         // 000000006568: D048004E 00027339
	v_bfe_u32 v208, v57, 16, 1                                 // 000000006570: D1C800D0 02052139
	v_add3_u32 v208, v57, v208, v211                           // 000000006578: D1FF00D0 074FA139
	v_cndmask_b32_e64 v29, v208, v210, s[78:79]                // 000000006580: D100001D 013BA5D0
	v_and_or_b32 v156, v29, v209, v28                          // 000000006588: D201009C 0473A31D
	v_mfma_f32_16x16x16_bf16 v[64:67], v[102:103], a[70:71], v[64:67]// 000000006590: D3E10040 15028D66
	v_cmp_u_f32_e64 s[78:79], v58, v58                         // 000000006598: D048004E 0002753A
	v_bfe_u32 v208, v58, 16, 1                                 // 0000000065A0: D1C800D0 0205213A
	v_add3_u32 v208, v58, v208, v211                           // 0000000065A8: D1FF00D0 074FA13A
	v_cndmask_b32_e64 v28, v208, v210, s[78:79]                // 0000000065B0: D100001C 013BA5D0
	v_lshrrev_b32_e32 v28, 16, v28                             // 0000000065B8: 20383890
	v_cmp_u_f32_e64 s[78:79], v59, v59                         // 0000000065BC: D048004E 0002773B
	v_bfe_u32 v208, v59, 16, 1                                 // 0000000065C4: D1C800D0 0205213B
	v_add3_u32 v208, v59, v208, v211                           // 0000000065CC: D1FF00D0 074FA13B
	v_cndmask_b32_e64 v29, v208, v210, s[78:79]                // 0000000065D4: D100001D 013BA5D0
	v_and_or_b32 v157, v29, v209, v28                          // 0000000065DC: D201009D 0473A31D
	v_add_u32_e32 v7, s66, v7                                  // 0000000065E4: 680E0E42
	v_add_u32_e32 v8, s66, v8                                  // 0000000065E8: 68101042
	s_waitcnt lgkmcnt(0)                                       // 0000000065EC: BF8CC07F
	s_barrier                                                  // 0000000065F0: BF8A0000
	v_mfma_f32_16x16x16_bf16 v[160:163], v[104:105], v[156:157], v[160:163]// 0000000065F4: D3E100A0 06833968
	v_subrev_f32_dpp v64, v158, v64 quad_perm:[0,0,0,0] row_mask:0xf bank_mask:0xf// 0000000065FC: 068080FA FF00009E
	v_subrev_f32_dpp v65, v158, v65 quad_perm:[1,1,1,1] row_mask:0xf bank_mask:0xf// 000000006604: 068282FA FF00559E
	buffer_atomic_add_f32 v144, v7, s[32:35], 0 offen          // 00000000660C: E1341000 80089007
	v_mfma_f32_16x16x16_bf16 v[164:167], v[106:107], v[156:157], v[164:167]// 000000006614: D3E100A4 0693396A
	v_subrev_f32_dpp v66, v158, v66 quad_perm:[2,2,2,2] row_mask:0xf bank_mask:0xf// 00000000661C: 068484FA FF00AA9E
	v_subrev_f32_dpp v67, v158, v67 quad_perm:[3,3,3,3] row_mask:0xf bank_mask:0xf// 000000006624: 068686FA FF00FF9E
	buffer_atomic_add_f32 v145, v8, s[32:35], 0 offen          // 00000000662C: E1341000 80089108
	v_mfma_f32_16x16x16_bf16 v[168:171], v[108:109], v[156:157], v[168:171]// 000000006634: D3E100A8 06A3396C
	v_mul_f32_e32 v64, v56, v64                                // 00000000663C: 0A808138
	v_mul_f32_e32 v65, v57, v65                                // 000000006640: 0A828339
	buffer_atomic_add_f32 v146, v7, s[32:35], 0 offen offset:128// 000000006644: E1341080 80089207
	v_mfma_f32_16x16x16_bf16 v[172:175], v[110:111], v[156:157], v[172:175]// 00000000664C: D3E100AC 06B3396E
	v_mul_f32_e32 v66, v58, v66                                // 000000006654: 0A84853A
	v_mul_f32_e32 v67, v59, v67                                // 000000006658: 0A86873B
	buffer_atomic_add_f32 v147, v8, s[32:35], 0 offen offset:128// 00000000665C: E1341080 80089308
	v_mfma_f32_16x16x16_bf16 v[176:179], v[112:113], v[156:157], v[176:179]// 000000006664: D3E100B0 06C33970
	v_cmp_u_f32_e64 s[78:79], v64, v64                         // 00000000666C: D048004E 00028140
	v_bfe_u32 v208, v64, 16, 1                                 // 000000006674: D1C800D0 02052140
	v_add3_u32 v208, v64, v208, v211                           // 00000000667C: D1FF00D0 074FA140
	v_cndmask_b32_e64 v28, v208, v210, s[78:79]                // 000000006684: D100001C 013BA5D0
	v_lshrrev_b32_e32 v28, 16, v28                             // 00000000668C: 20383890
	v_cmp_u_f32_e64 s[78:79], v65, v65                         // 000000006690: D048004E 00028341
	v_bfe_u32 v208, v65, 16, 1                                 // 000000006698: D1C800D0 02052141
	v_add3_u32 v208, v65, v208, v211                           // 0000000066A0: D1FF00D0 074FA141
	v_cndmask_b32_e64 v29, v208, v210, s[78:79]                // 0000000066A8: D100001D 013BA5D0
	v_and_or_b32 v64, v29, v209, v28                           // 0000000066B0: D2010040 0473A31D
	v_mfma_f32_16x16x16_bf16 v[180:183], v[114:115], v[156:157], v[180:183]// 0000000066B8: D3E100B4 06D33972
	v_cmp_u_f32_e64 s[78:79], v66, v66                         // 0000000066C0: D048004E 00028542
	v_bfe_u32 v208, v66, 16, 1                                 // 0000000066C8: D1C800D0 02052142
	v_add3_u32 v208, v66, v208, v211                           // 0000000066D0: D1FF00D0 074FA142
	v_cndmask_b32_e64 v28, v208, v210, s[78:79]                // 0000000066D8: D100001C 013BA5D0
	v_lshrrev_b32_e32 v28, 16, v28                             // 0000000066E0: 20383890
	v_cmp_u_f32_e64 s[78:79], v67, v67                         // 0000000066E4: D048004E 00028743
	v_bfe_u32 v208, v67, 16, 1                                 // 0000000066EC: D1C800D0 02052143
	v_add3_u32 v208, v67, v208, v211                           // 0000000066F4: D1FF00D0 074FA143
	v_cndmask_b32_e64 v29, v208, v210, s[78:79]                // 0000000066FC: D100001D 013BA5D0
	v_and_or_b32 v65, v29, v209, v28                           // 000000006704: D2010041 0473A31D
	v_mfma_f32_16x16x16_bf16 v[184:187], v[116:117], v[156:157], v[184:187]// 00000000670C: D3E100B8 06E33974
	v_mov_b32_dpp v16, v64 quad_perm:[1,0,3,2] row_mask:0xf bank_mask:0xf// 000000006714: 7E2002FA FF00B140
	v_perm_b32 v56, v16, v64, v15                              // 00000000671C: D1ED0038 043E8110
	buffer_atomic_add_f32 v148, v7, s[32:35], 0 offen offset:256// 000000006724: E1341100 80089407
	v_mfma_f32_16x16x16_bf16 v[188:191], v[118:119], v[156:157], v[188:191]// 00000000672C: D3E100BC 06F33976
	v_mov_b32_dpp v16, v65 quad_perm:[1,0,3,2] row_mask:0xf bank_mask:0xf// 000000006734: 7E2002FA FF00B141
	v_perm_b32 v57, v16, v65, v15                              // 00000000673C: D1ED0039 043E8310
	buffer_atomic_add_f32 v149, v8, s[32:35], 0 offen offset:256// 000000006744: E1341100 80089508
	v_mfma_f32_16x16x16_bf16 v[192:195], v[120:121], v[156:157], v[192:195]// 00000000674C: D3E100C0 07033978
	ds_write_b32 v13, v68 offset:6528                          // 000000006754: D81A1980 0000440D
	ds_write_b32 v13, v69 offset:7584                          // 00000000675C: D81A1DA0 0000450D
	v_mfma_f32_16x16x16_bf16 v[196:199], v[122:123], v[156:157], v[196:199]// 000000006764: D3E100C4 0713397A
	ds_write_b32 v18, v56 offset:26112                         // 00000000676C: D81A6600 00003812
	ds_write_b32 v18, v57 offset:26656                         // 000000006774: D81A6820 00003912
	v_mfma_f32_16x16x16_bf16 v[200:203], v[124:125], v[156:157], v[200:203]// 00000000677C: D3E100C8 0723397C
	ds_write_b32 v13, v70 offset:8704                          // 000000006784: D81A2200 0000460D
	ds_write_b32 v13, v71 offset:9760                          // 00000000678C: D81A2620 0000470D
	v_mfma_f32_16x16x16_bf16 v[204:207], v[126:127], v[156:157], v[204:207]// 000000006794: D3E100CC 0733397E
	ds_write_b32 v13, v72 offset:10880                         // 00000000679C: D81A2A80 0000480D
	ds_write_b32 v13, v73 offset:11936                         // 0000000067A4: D81A2EA0 0000490D
	s_barrier                                                  // 0000000067AC: BF8A0000
	v_mfma_f32_16x16x16_bf16 a[96:99], a[72:73], v[64:65], a[96:99]// 0000000067B0: D3E18060 0D828148
	buffer_atomic_add_f32 v150, v7, s[32:35], 0 offen offset:384// 0000000067B8: E1341180 80089607
	buffer_atomic_add_f32 v151, v8, s[32:35], 0 offen offset:384// 0000000067C0: E1341180 80089708
	v_mfma_f32_16x16x16_bf16 a[100:103], a[74:75], v[64:65], a[100:103]// 0000000067C8: D3E18064 0D92814A
	ds_read_b32 v128, v21 offset:40704                         // 0000000067D0: D86C9F00 80000015
	ds_read_b32 v158, v21 offset:40960                         // 0000000067D8: D86CA000 9E000015
	v_mfma_f32_16x16x16_bf16 a[104:107], a[76:77], v[64:65], a[104:107]// 0000000067E0: D3E18068 0DA2814C
	s_waitcnt lgkmcnt(6)                                       // 0000000067E8: BF8CC67F
	s_barrier                                                  // 0000000067EC: BF8A0000
	v_mfma_f32_16x16x16_bf16 a[108:111], a[78:79], v[64:65], a[108:111]// 0000000067F0: D3E1806C 0DB2814E
	ds_read_b128 v[56:59], v17 offset:26112                    // 0000000067F8: D9FE6600 38000011
	v_mfma_f32_16x16x16_bf16 a[112:115], a[80:81], v[64:65], a[112:115]// 000000006800: D3E18070 0DC28150
	s_mov_b64 exec, s[94:95]                                   // 000000006808: BEFE015E
	buffer_atomic_add_f32 v152, v7, s[32:35], 0 offen offset:512// 00000000680C: E1341200 80089807
	s_mov_b32 exec_lo, -1                                      // 000000006814: BEFE00C1
	s_mov_b32 exec_hi, -1                                      // 000000006818: BEFF00C1
	v_mfma_f32_16x16x16_bf16 a[116:119], a[82:83], v[64:65], a[116:119]// 00000000681C: D3E18074 0DD28152
	ds_read_b128 v[60:63], v17 offset:27264                    // 000000006824: D9FE6A80 3C000011
	v_mfma_f32_16x16x16_bf16 a[120:123], a[84:85], v[64:65], a[120:123]// 00000000682C: D3E18078 0DE28154
	s_mov_b64 exec, s[94:95]                                   // 000000006834: BEFE015E
	buffer_atomic_add_f32 v153, v8, s[32:35], 0 offen offset:512// 000000006838: E1341200 80089908
	s_mov_b32 exec_lo, -1                                      // 000000006840: BEFE00C1
	s_mov_b32 exec_hi, -1                                      // 000000006844: BEFF00C1
	v_mfma_f32_16x16x16_bf16 a[124:127], a[86:87], v[64:65], a[124:127]// 000000006848: D3E1807C 0DF28156
	ds_write_b32 v13, v74 offset:19584                         // 000000006850: D81A4C80 00004A0D
	ds_write_b32 v13, v75 offset:20640                         // 000000006858: D81A50A0 00004B0D
	v_mfma_f32_16x16x16_bf16 a[128:131], a[88:89], v[64:65], a[128:131]// 000000006860: D3E18080 0E028158
	s_mov_b64 exec, s[96:97]                                   // 000000006868: BEFE0160
	buffer_atomic_add_f32 v154, v7, s[32:35], 0 offen offset:640// 00000000686C: E1341280 80089A07
	s_mov_b32 exec_lo, -1                                      // 000000006874: BEFE00C1
	s_mov_b32 exec_hi, -1                                      // 000000006878: BEFF00C1
	v_mfma_f32_16x16x16_bf16 a[132:135], a[90:91], v[64:65], a[132:135]// 00000000687C: D3E18084 0E12815A
	ds_write_b32 v13, v76 offset:21760                         // 000000006884: D81A5500 00004C0D
	ds_write_b32 v13, v77 offset:22816                         // 00000000688C: D81A5920 00004D0D
	v_mfma_f32_16x16x16_bf16 a[136:139], a[92:93], v[64:65], a[136:139]// 000000006894: D3E18088 0E22815C
	s_mov_b64 exec, s[96:97]                                   // 00000000689C: BEFE0160
	buffer_atomic_add_f32 v155, v8, s[32:35], 0 offen offset:640// 0000000068A0: E1341280 80089B08
	s_mov_b32 exec_lo, -1                                      // 0000000068A8: BEFE00C1
	s_mov_b32 exec_hi, -1                                      // 0000000068AC: BEFF00C1
	v_mfma_f32_16x16x16_bf16 a[140:143], a[94:95], v[64:65], a[140:143]// 0000000068B0: D3E1808C 0E32815E
	ds_write_b32 v13, v78 offset:23936                         // 0000000068B8: D81A5D80 00004E0D
	ds_write_b32 v13, v79 offset:24992                         // 0000000068C0: D81A61A0 00004F0D
	s_waitcnt vmcnt(12) lgkmcnt(6)                             // 0000000068C8: BF8C067C
	s_barrier                                                  // 0000000068CC: BF8A0000
	v_mfma_f32_16x16x16_bf16 v[132:135], v[56:57], a[24:25], 0 // 0000000068D0: D3E10084 12023138
	v_mul_f32_e32 v128, s48, v128                              // 0000000068D8: 0B010030
	v_perm_b32 v68, v39, v38, s63                              // 0000000068DC: D1ED0044 00FE4D27
	v_perm_b32 v69, v39, v38, s64                              // 0000000068E4: D1ED0045 01024D27
	v_perm_b32 v70, v41, v40, s63                              // 0000000068EC: D1ED0046 00FE5129
	v_mfma_f32_16x16x16_bf16 v[132:135], v[58:59], a[30:31], v[132:135]// 0000000068F4: D3E10084 16123D3A
	ds_read_b128 a[72:75], v10                                 // 0000000068FC: DBFE0000 4800000A
	ds_read_b128 a[76:79], v10 offset:512                      // 000000006904: DBFE0200 4C00000A
	ds_read_b128 a[80:83], v10 offset:2176                     // 00000000690C: DBFE0880 5000000A
	buffer_load_dword v32, v1, s[8:11], 0 idxen                // 000000006914: E0502000 80022001
	buffer_load_dword v33, v2, s[8:11], 0 idxen                // 00000000691C: E0502000 80022102
	v_mfma_f32_16x16x16_bf16 v[132:135], v[60:61], a[36:37], v[132:135]// 000000006924: D3E10084 1612493C
	v_perm_b32 v71, v41, v40, s64                              // 00000000692C: D1ED0047 01025129
	v_perm_b32 v72, v43, v42, s63                              // 000000006934: D1ED0048 00FE552B
	v_perm_b32 v73, v43, v42, s64                              // 00000000693C: D1ED0049 0102552B
	v_mfma_f32_16x16x16_bf16 v[132:135], v[62:63], a[42:43], v[132:135]// 000000006944: D3E10084 1612553E
	ds_read_b128 a[84:87], v10 offset:2688                     // 00000000694C: DBFE0A80 5400000A
	ds_read_b128 a[88:91], v10 offset:4352                     // 000000006954: DBFE1100 5800000A
	ds_read_b128 a[92:95], v10 offset:4864                     // 00000000695C: DBFE1300 5C00000A
	buffer_load_dword v34, v1, s[8:11], 0 idxen offset:128     // 000000006964: E0502080 80022201
	buffer_load_dword v35, v2, s[8:11], 0 idxen offset:128     // 00000000696C: E0502080 80022302
	v_mfma_f32_16x16x16_bf16 v[136:139], v[56:57], a[26:27], 0 // 000000006974: D3E10088 12023538
	v_perm_b32 v74, v51, v50, s63                              // 00000000697C: D1ED004A 00FE6533
	v_perm_b32 v75, v51, v50, s64                              // 000000006984: D1ED004B 01026533
	v_perm_b32 v76, v53, v52, s63                              // 00000000698C: D1ED004C 00FE6935
	v_mov_b32_dpp v131, v128 quad_perm:[3,3,3,3] row_mask:0xf bank_mask:0xf// 000000006994: 7F0602FA FF00FF80
	v_mov_b32_dpp v130, v128 quad_perm:[2,2,2,2] row_mask:0xf bank_mask:0xf// 00000000699C: 7F0402FA FF00AA80
	v_mfma_f32_16x16x16_bf16 v[136:139], v[58:59], a[32:33], v[136:139]// 0000000069A4: D3E10088 1622413A
	ds_read_b128 v[80:83], v10 offset:13056                    // 0000000069AC: D9FE3300 5000000A
	ds_read_b128 v[84:87], v10 offset:13568                    // 0000000069B4: D9FE3500 5400000A
	ds_read_b128 v[88:91], v10 offset:15232                    // 0000000069BC: D9FE3B80 5800000A
	buffer_load_dword v44, v212, s[20:23], 0 idxen             // 0000000069C4: E0502000 80052CD4
	buffer_load_dword v45, v213, s[20:23], 0 idxen             // 0000000069CC: E0502000 80052DD5
	v_mfma_f32_16x16x16_bf16 v[136:139], v[60:61], a[38:39], v[136:139]// 0000000069D4: D3E10088 16224D3C
	v_perm_b32 v77, v53, v52, s64                              // 0000000069DC: D1ED004D 01026935
	v_perm_b32 v78, v55, v54, s63                              // 0000000069E4: D1ED004E 00FE6D37
	v_perm_b32 v79, v55, v54, s64                              // 0000000069EC: D1ED004F 01026D37
	v_mov_b32_dpp v129, v128 quad_perm:[1,1,1,1] row_mask:0xf bank_mask:0xf// 0000000069F4: 7F0202FA FF005580
	v_mov_b32_dpp v128, v128 quad_perm:[0,0,0,0] row_mask:0xf bank_mask:0xf// 0000000069FC: 7F0002FA FF000080
	v_mfma_f32_16x16x16_bf16 v[136:139], v[62:63], a[44:45], v[136:139]// 000000006A04: D3E10088 1622593E
	ds_read_b128 v[92:95], v10 offset:15744                    // 000000006A0C: D9FE3D80 5C00000A
	ds_read_b128 v[96:99], v10 offset:17408                    // 000000006A14: D9FE4400 6000000A
	ds_read_b128 v[100:103], v10 offset:17920                  // 000000006A1C: D9FE4600 6400000A
	buffer_load_dword v46, v212, s[20:23], 0 idxen offset:128  // 000000006A24: E0502080 80052ED4
	buffer_load_dword v47, v213, s[20:23], 0 idxen offset:128  // 000000006A2C: E0502080 80052FD5
	v_mfma_f32_16x16x16_bf16 v[140:143], v[56:57], a[28:29], 0 // 000000006A34: D3E1008C 12023938
	s_add_u32 s60, 64, s59                                     // 000000006A3C: 803C3BC0
	s_cmp_lt_u32 s60, s58                                      // 000000006A40: BF0A3A3C
	s_cselect_b32 s68, s68, 0                                  // 000000006A44: 85448044
	s_cselect_b32 s99, s99, 0                                  // 000000006A48: 85638063
	s_cselect_b32 s69, s69, 0                                  // 000000006A4C: 85458045
	v_mfma_f32_16x16x16_bf16 v[140:143], v[58:59], a[34:35], v[140:143]// 000000006A50: D3E1008C 1632453A
	buffer_load_dword v9, s[24:27], 0 idxen lds                // 000000006A58: E0512000 80060009
	v_mov_b32_e32 v36, 0                                       // 000000006A60: 7E480280
	s_mov_b64 exec, s[90:91]                                   // 000000006A64: BEFE015A
	buffer_load_dword v36, v1, s[8:11], 0 idxen offset:256     // 000000006A68: E0502100 80022401
	s_mov_b32 exec_lo, -1                                      // 000000006A70: BEFE00C1
	s_mov_b32 exec_hi, -1                                      // 000000006A74: BEFF00C1
	v_mov_b32_e32 v37, 0                                       // 000000006A78: 7E4A0280
	s_mov_b64 exec, s[90:91]                                   // 000000006A7C: BEFE015A
	buffer_load_dword v37, v2, s[8:11], 0 idxen offset:256     // 000000006A80: E0502100 80022502
	s_mov_b32 exec_lo, -1                                      // 000000006A88: BEFE00C1
	s_mov_b32 exec_hi, -1                                      // 000000006A8C: BEFF00C1
	v_mfma_f32_16x16x16_bf16 v[140:143], v[60:61], a[40:41], v[140:143]// 000000006A90: D3E1008C 1632513C
	v_mov_b32_e32 v48, 0                                       // 000000006A98: 7E600280
	s_mov_b64 exec, s[90:91]                                   // 000000006A9C: BEFE015A
	buffer_load_dword v48, v212, s[20:23], 0 idxen offset:256  // 000000006AA0: E0502100 800530D4
	s_mov_b32 exec_lo, -1                                      // 000000006AA8: BEFE00C1
	s_mov_b32 exec_hi, -1                                      // 000000006AAC: BEFF00C1
	v_mov_b32_e32 v49, 0                                       // 000000006AB0: 7E620280
	s_mov_b64 exec, s[90:91]                                   // 000000006AB4: BEFE015A
	buffer_load_dword v49, v213, s[20:23], 0 idxen offset:256  // 000000006AB8: E0502100 800531D5
	s_mov_b32 exec_lo, -1                                      // 000000006AC0: BEFE00C1
	s_mov_b32 exec_hi, -1                                      // 000000006AC4: BEFF00C1
	v_add_u32_e32 v1, s68, v1                                  // 000000006AC8: 68020244
	v_add_u32_e32 v2, s68, v2                                  // 000000006ACC: 68040444
	v_add_u32_e32 v212, s99, v212                              // 000000006AD0: 69A9A863
	v_add_u32_e32 v213, s99, v213                              // 000000006AD4: 69ABAA63
	s_mov_b32 m0, s81                                          // 000000006AD8: BEFC0051
	v_add_u32_e32 v9, s69, v9                                  // 000000006ADC: 68121245
	v_mfma_f32_16x16x16_bf16 v[140:143], v[62:63], a[46:47], v[140:143]// 000000006AE0: D3E1008C 16325D3E
	s_cmp_ge_u32 s59, s73                                      // 000000006AE8: BF09493B
	s_cselect_b32 s66, s67, s66                                // 000000006AEC: 85424243
	s_addk_i32 s59, 0x10                                       // 000000006AF0: B73B0010
	s_nop 0                                                    // 000000006AF4: BF800000
	s_cmp_lt_i32 s59, s58                                      // 000000006AF8: BF043A3B
	s_cbranch_scc0 label_0AC1                                  // 000000006AFC: BF840001
	s_branch label_0642                                        // 000000006B00: BF82FB81

0000000000006b04 <label_0AC1>:
	s_nop 0                                                    // 000000006B04: BF800000
	s_nop 0                                                    // 000000006B08: BF800000
	s_branch label_0F43                                        // 000000006B0C: BF82047F

0000000000006b10 <label_0AC4>:
	s_waitcnt lgkmcnt(0)                                       // 000000006B10: BF8CC07F
	s_barrier                                                  // 000000006B14: BF8A0000
	v_mfma_f32_16x16x16_bf16 v[56:59], a[72:73], a[0:1], 0     // 000000006B18: D3E10038 1A020148
	v_mul_f32_e32 v132, s47, v132                              // 000000006B20: 0B09082F
	v_mul_f32_e32 v133, s47, v133                              // 000000006B24: 0B0B0A2F
	v_mul_f32_e32 v134, s47, v134                              // 000000006B28: 0B0D0C2F
	v_mul_f32_e32 v135, s47, v135                              // 000000006B2C: 0B0F0E2F
	v_mfma_f32_16x16x16_bf16 v[56:59], a[74:75], a[2:3], v[56:59]// 000000006B30: D3E10038 1CE2054A
	ds_write_b32 v11, v50 offset:13056                         // 000000006B38: D81A3300 0000320B
	ds_write_b32 v11, v51 offset:14112                         // 000000006B40: D81A3720 0000330B
	ds_write_b32 v11, v52 offset:15232                         // 000000006B48: D81A3B80 0000340B
	v_mfma_f32_16x16x16_bf16 v[56:59], a[76:77], a[4:5], v[56:59]// 000000006B50: D3E10038 1CE2094C
	v_mul_f32_e32 v136, s47, v136                              // 000000006B58: 0B11102F
	v_mul_f32_e32 v137, s47, v137                              // 000000006B5C: 0B13122F
	v_mul_f32_e32 v138, s47, v138                              // 000000006B60: 0B15142F
	v_mul_f32_e32 v139, s47, v139                              // 000000006B64: 0B17162F
	v_mfma_f32_16x16x16_bf16 v[56:59], a[78:79], a[6:7], v[56:59]// 000000006B68: D3E10038 1CE20D4E
	ds_write_b32 v11, v53 offset:16288                         // 000000006B70: D81A3FA0 0000350B
	ds_write_b32 v11, v54 offset:17408                         // 000000006B78: D81A4400 0000360B
	ds_write_b32 v11, v55 offset:18464                         // 000000006B80: D81A4820 0000370B
	v_mfma_f32_16x16x16_bf16 v[56:59], a[80:81], a[8:9], v[56:59]// 000000006B88: D3E10038 1CE21150
	v_mul_f32_e32 v140, s47, v140                              // 000000006B90: 0B19182F
	v_mul_f32_e32 v141, s47, v141                              // 000000006B94: 0B1B1A2F
	v_mul_f32_e32 v142, s47, v142                              // 000000006B98: 0B1D1C2F
	v_mul_f32_e32 v143, s47, v143                              // 000000006B9C: 0B1F1E2F
	v_mfma_f32_16x16x16_bf16 v[56:59], a[82:83], a[10:11], v[56:59]// 000000006BA0: D3E10038 1CE21552
	ds_write_b64 v20, v[132:133] offset:28416                  // 000000006BA8: D89A6F00 00008414
	ds_write_b64 v20, v[134:135] offset:28928                  // 000000006BB0: D89A7100 00008614
	v_mfma_f32_16x16x16_bf16 v[56:59], a[84:85], a[12:13], v[56:59]// 000000006BB8: D3E10038 1CE21954
	ds_write_b64 v20, v[136:137] offset:29440                  // 000000006BC0: D89A7300 00008814
	ds_write_b64 v20, v[138:139] offset:29952                  // 000000006BC8: D89A7500 00008A14
	v_mfma_f32_16x16x16_bf16 v[56:59], a[86:87], a[14:15], v[56:59]// 000000006BD0: D3E10038 1CE21D56
	ds_write_b64 v20, v[140:141] offset:30464                  // 000000006BD8: D89A7700 00008C14
	ds_write_b64 v20, v[142:143] offset:30976                  // 000000006BE0: D89A7900 00008E14
	v_mfma_f32_16x16x16_bf16 v[56:59], a[88:89], a[16:17], v[56:59]// 000000006BE8: D3E10038 1CE22158
	ds_read_b128 v[104:107], v12 offset:19584                  // 000000006BF0: D9FE4C80 6800000C
	v_mfma_f32_16x16x16_bf16 v[56:59], a[90:91], a[18:19], v[56:59]// 000000006BF8: D3E10038 1CE2255A
	ds_read_b128 v[108:111], v12 offset:20096                  // 000000006C00: D9FE4E80 6C00000C
	v_mfma_f32_16x16x16_bf16 v[56:59], a[92:93], a[20:21], v[56:59]// 000000006C08: D3E10038 1CE2295C
	ds_read_b128 v[112:115], v12 offset:21760                  // 000000006C10: D9FE5500 7000000C
	ds_read_b128 v[116:119], v12 offset:22272                  // 000000006C18: D9FE5700 7400000C
	v_mfma_f32_16x16x16_bf16 v[56:59], a[94:95], a[22:23], v[56:59]// 000000006C20: D3E10038 1CE22D5E
	ds_read_b128 v[120:123], v12 offset:23936                  // 000000006C28: D9FE5D80 7800000C
	ds_read_b128 v[124:127], v12 offset:24448                  // 000000006C30: D9FE5F80 7C00000C
	s_cmp_lt_i32 s74, 4                                        // 000000006C38: BF04844A
	s_cbranch_scc0 label_0B3A                                  // 000000006C3C: BF84002A
	s_mov_b32 s60, 0xffe0fffe                                  // 000000006C40: BEBC00FF FFE0FFFE
	s_mov_b32 s61, 0xe000fe00                                  // 000000006C48: BEBD00FF E000FE00
	s_nop 0                                                    // 000000006C50: BF800000
	s_cmp_lt_i32 s74, s46                                      // 000000006C54: BF042E4A
	s_cbranch_scc1 label_0B35                                  // 000000006C58: BF85001E
	s_cmp_eq_i32 s74, s46                                      // 000000006C5C: BF002E4A
	s_cbranch_scc1 label_0B1A                                  // 000000006C60: BF850001
	s_branch label_0B3A                                        // 000000006C64: BF820020

0000000000006c68 <label_0B1A>:
	v_cndmask_b32_e64 v56, v56, v159, s[60:61]                 // 000000006C68: D1000038 00F33F38
	s_lshl_b32 s60, s60, 1                                     // 000000006C70: 8E3C813C
	s_lshl_b32 s61, s61, 1                                     // 000000006C74: 8E3D813D
	s_and_b32 s60, 0xfffeffff, s60                             // 000000006C78: 863C3CFF FFFEFFFF
	s_and_b32 s61, 0xfffeffff, s61                             // 000000006C80: 863D3DFF FFFEFFFF
	v_cndmask_b32_e64 v57, v57, v159, s[60:61]                 // 000000006C88: D1000039 00F33F39
	s_lshl_b32 s60, s60, 1                                     // 000000006C90: 8E3C813C
	s_lshl_b32 s61, s61, 1                                     // 000000006C94: 8E3D813D
	s_and_b32 s60, 0xfffeffff, s60                             // 000000006C98: 863C3CFF FFFEFFFF
	s_and_b32 s61, 0xfffeffff, s61                             // 000000006CA0: 863D3DFF FFFEFFFF
	v_cndmask_b32_e64 v58, v58, v159, s[60:61]                 // 000000006CA8: D100003A 00F33F3A
	s_lshl_b32 s60, s60, 1                                     // 000000006CB0: 8E3C813C
	s_lshl_b32 s61, s61, 1                                     // 000000006CB4: 8E3D813D
	s_and_b32 s60, 0xfffeffff, s60                             // 000000006CB8: 863C3CFF FFFEFFFF
	s_and_b32 s61, 0xfffeffff, s61                             // 000000006CC0: 863D3DFF FFFEFFFF
	v_cndmask_b32_e64 v59, v59, v159, s[60:61]                 // 000000006CC8: D100003B 00F33F3B
	s_branch label_0B3A                                        // 000000006CD0: BF820005

0000000000006cd4 <label_0B35>:
	v_mov_b32_e32 v56, v159                                    // 000000006CD4: 7E70039F
	v_mov_b32_e32 v57, v159                                    // 000000006CD8: 7E72039F
	v_mov_b32_e32 v58, v159                                    // 000000006CDC: 7E74039F
	v_mov_b32_e32 v59, v159                                    // 000000006CE0: 7E76039F
	s_branch label_0B3A                                        // 000000006CE4: BF820000

0000000000006ce8 <label_0B3A>:
	s_cmp_lt_i32 s100, 64                                      // 000000006CE8: BF04C064
	s_cbranch_scc0 label_0B4B                                  // 000000006CEC: BF84000F
	v_and_b32_e32 v28, 15, v0                                  // 000000006CF0: 2638008F
	v_mul_i32_i24_e64 v29, s46, 16                             // 000000006CF4: D106001D 0001202E
	v_add_u32_e32 v28, v28, v29                                // 000000006CFC: 68383B1C
	v_cmp_lt_u32_e64 s[60:61], v28, s100                       // 000000006D00: D0C9003C 0000C91C
	s_nop 1                                                    // 000000006D08: BF800001
	v_cndmask_b32_e64 v56, v159, v56, s[60:61]                 // 000000006D0C: D1000038 00F2719F
	v_cndmask_b32_e64 v57, v159, v57, s[60:61]                 // 000000006D14: D1000039 00F2739F
	v_cndmask_b32_e64 v58, v159, v58, s[60:61]                 // 000000006D1C: D100003A 00F2759F
	v_cndmask_b32_e64 v59, v159, v59, s[60:61]                 // 000000006D24: D100003B 00F2779F

0000000000006d2c <label_0B4B>:
	s_addk_i32 s74, 0x1                                        // 000000006D2C: B74A0001
	s_waitcnt lgkmcnt(6)                                       // 000000006D30: BF8CC67F
	s_barrier                                                  // 000000006D34: BF8A0000
	v_mfma_f32_16x16x16_bf16 v[64:67], v[80:81], a[48:49], 0   // 000000006D38: D3E10040 12026150
	v_fma_f32 v56, v56, s57, -v128                             // 000000006D40: D1CB0038 86007338
	v_fma_f32 v57, v57, s57, -v129                             // 000000006D48: D1CB0039 86047339
	v_fma_f32 v58, v58, s57, -v130                             // 000000006D50: D1CB003A 8608733A
	v_fma_f32 v59, v59, s57, -v131                             // 000000006D58: D1CB003B 860C733B
	v_mfma_f32_16x16x16_bf16 v[64:67], v[82:83], a[50:51], v[64:67]// 000000006D60: D3E10040 15026552
	ds_read_b128 a[72:75], v12 offset:6528                     // 000000006D68: DBFE1980 4800000C
	ds_read_b128 a[76:79], v12 offset:7040                     // 000000006D70: DBFE1B80 4C00000C
	ds_write_b32 v11, v38                                      // 000000006D78: D81A0000 0000260B
	ds_write_b32 v11, v39 offset:1056                          // 000000006D80: D81A0420 0000270B
	v_mfma_f32_16x16x16_bf16 v[64:67], v[84:85], a[52:53], v[64:67]// 000000006D88: D3E10040 15026954
	v_exp_f32_e32 v56, v56                                     // 000000006D90: 7E704138
	v_mfma_f32_16x16x16_bf16 v[64:67], v[86:87], a[54:55], v[64:67]// 000000006D94: D3E10040 15026D56
	ds_read_b128 a[80:83], v12 offset:8704                     // 000000006D9C: DBFE2200 5000000C
	ds_read_b128 a[84:87], v12 offset:9216                     // 000000006DA4: DBFE2400 5400000C
	ds_write_b32 v11, v40 offset:2176                          // 000000006DAC: D81A0880 0000280B
	v_mfma_f32_16x16x16_bf16 v[64:67], v[88:89], a[56:57], v[64:67]// 000000006DB4: D3E10040 15027158
	v_exp_f32_e32 v57, v57                                     // 000000006DBC: 7E724139
	v_mfma_f32_16x16x16_bf16 v[64:67], v[90:91], a[58:59], v[64:67]// 000000006DC0: D3E10040 1502755A
	ds_read_b128 a[88:91], v12 offset:10880                    // 000000006DC8: DBFE2A80 5800000C
	ds_read_b128 a[92:95], v12 offset:11392                    // 000000006DD0: DBFE2C80 5C00000C
	ds_write_b32 v11, v41 offset:3232                          // 000000006DD8: D81A0CA0 0000290B
	v_mfma_f32_16x16x16_bf16 v[64:67], v[92:93], a[60:61], v[64:67]// 000000006DE0: D3E10040 1502795C
	v_exp_f32_e32 v58, v58                                     // 000000006DE8: 7E74413A
	v_mfma_f32_16x16x16_bf16 v[64:67], v[94:95], a[62:63], v[64:67]// 000000006DEC: D3E10040 15027D5E
	ds_read_b64 v[144:145], v19 offset:28416                   // 000000006DF4: D8EC6F00 90000013
	ds_read_b64 v[146:147], v19 offset:30464                   // 000000006DFC: D8EC7700 92000013
	ds_read_b64 v[148:149], v19 offset:32512                   // 000000006E04: D8EC7F00 94000013
	ds_write_b32 v11, v42 offset:4352                          // 000000006E0C: D81A1100 00002A0B
	v_mfma_f32_16x16x16_bf16 v[64:67], v[96:97], a[64:65], v[64:67]// 000000006E14: D3E10040 15028160
	v_exp_f32_e32 v59, v59                                     // 000000006E1C: 7E76413B
	v_mfma_f32_16x16x16_bf16 v[64:67], v[98:99], a[66:67], v[64:67]// 000000006E20: D3E10040 15028562
	ds_read_b64 v[150:151], v19 offset:34560                   // 000000006E28: D8EC8700 96000013
	ds_read_b64 v[152:153], v19 offset:36608                   // 000000006E30: D8EC8F00 98000013
	ds_read_b64 v[154:155], v19 offset:38656                   // 000000006E38: D8EC9700 9A000013
	ds_write_b32 v11, v43 offset:5408                          // 000000006E40: D81A1520 00002B0B
	v_mfma_f32_16x16x16_bf16 v[64:67], v[100:101], a[68:69], v[64:67]// 000000006E48: D3E10040 15028964
	v_cmp_u_f32_e64 s[78:79], v56, v56                         // 000000006E50: D048004E 00027138
	v_bfe_u32 v208, v56, 16, 1                                 // 000000006E58: D1C800D0 02052138
	v_add3_u32 v208, v56, v208, v211                           // 000000006E60: D1FF00D0 074FA138
	v_cndmask_b32_e64 v28, v208, v210, s[78:79]                // 000000006E68: D100001C 013BA5D0
	v_lshrrev_b32_e32 v28, 16, v28                             // 000000006E70: 20383890
	v_cmp_u_f32_e64 s[78:79], v57, v57                         // 000000006E74: D048004E 00027339
	v_bfe_u32 v208, v57, 16, 1                                 // 000000006E7C: D1C800D0 02052139
	v_add3_u32 v208, v57, v208, v211                           // 000000006E84: D1FF00D0 074FA139
	v_cndmask_b32_e64 v29, v208, v210, s[78:79]                // 000000006E8C: D100001D 013BA5D0
	v_and_or_b32 v156, v29, v209, v28                          // 000000006E94: D201009C 0473A31D
	v_mfma_f32_16x16x16_bf16 v[64:67], v[102:103], a[70:71], v[64:67]// 000000006E9C: D3E10040 15028D66
	v_cmp_u_f32_e64 s[78:79], v58, v58                         // 000000006EA4: D048004E 0002753A
	v_bfe_u32 v208, v58, 16, 1                                 // 000000006EAC: D1C800D0 0205213A
	v_add3_u32 v208, v58, v208, v211                           // 000000006EB4: D1FF00D0 074FA13A
	v_cndmask_b32_e64 v28, v208, v210, s[78:79]                // 000000006EBC: D100001C 013BA5D0
	v_lshrrev_b32_e32 v28, 16, v28                             // 000000006EC4: 20383890
	v_cmp_u_f32_e64 s[78:79], v59, v59                         // 000000006EC8: D048004E 0002773B
	v_bfe_u32 v208, v59, 16, 1                                 // 000000006ED0: D1C800D0 0205213B
	v_add3_u32 v208, v59, v208, v211                           // 000000006ED8: D1FF00D0 074FA13B
	v_cndmask_b32_e64 v29, v208, v210, s[78:79]                // 000000006EE0: D100001D 013BA5D0
	v_and_or_b32 v157, v29, v209, v28                          // 000000006EE8: D201009D 0473A31D
	v_add_u32_e32 v7, s66, v7                                  // 000000006EF0: 680E0E42
	v_add_u32_e32 v8, s66, v8                                  // 000000006EF4: 68101042
	s_waitcnt lgkmcnt(0)                                       // 000000006EF8: BF8CC07F
	s_barrier                                                  // 000000006EFC: BF8A0000
	v_mfma_f32_16x16x16_bf16 v[160:163], v[104:105], v[156:157], v[160:163]// 000000006F00: D3E100A0 06833968
	v_subrev_f32_dpp v64, v158, v64 quad_perm:[0,0,0,0] row_mask:0xf bank_mask:0xf// 000000006F08: 068080FA FF00009E
	v_subrev_f32_dpp v65, v158, v65 quad_perm:[1,1,1,1] row_mask:0xf bank_mask:0xf// 000000006F10: 068282FA FF00559E
	buffer_atomic_add_f32 v144, v7, s[32:35], 0 offen          // 000000006F18: E1341000 80089007
	v_mfma_f32_16x16x16_bf16 v[164:167], v[106:107], v[156:157], v[164:167]// 000000006F20: D3E100A4 0693396A
	v_subrev_f32_dpp v66, v158, v66 quad_perm:[2,2,2,2] row_mask:0xf bank_mask:0xf// 000000006F28: 068484FA FF00AA9E
	v_subrev_f32_dpp v67, v158, v67 quad_perm:[3,3,3,3] row_mask:0xf bank_mask:0xf// 000000006F30: 068686FA FF00FF9E
	buffer_atomic_add_f32 v145, v8, s[32:35], 0 offen          // 000000006F38: E1341000 80089108
	v_mfma_f32_16x16x16_bf16 v[168:171], v[108:109], v[156:157], v[168:171]// 000000006F40: D3E100A8 06A3396C
	v_mul_f32_e32 v64, v56, v64                                // 000000006F48: 0A808138
	v_mul_f32_e32 v65, v57, v65                                // 000000006F4C: 0A828339
	buffer_atomic_add_f32 v146, v7, s[32:35], 0 offen offset:128// 000000006F50: E1341080 80089207
	v_mfma_f32_16x16x16_bf16 v[172:175], v[110:111], v[156:157], v[172:175]// 000000006F58: D3E100AC 06B3396E
	v_mul_f32_e32 v66, v58, v66                                // 000000006F60: 0A84853A
	v_mul_f32_e32 v67, v59, v67                                // 000000006F64: 0A86873B
	buffer_atomic_add_f32 v147, v8, s[32:35], 0 offen offset:128// 000000006F68: E1341080 80089308
	v_mfma_f32_16x16x16_bf16 v[176:179], v[112:113], v[156:157], v[176:179]// 000000006F70: D3E100B0 06C33970
	v_cmp_u_f32_e64 s[78:79], v64, v64                         // 000000006F78: D048004E 00028140
	v_bfe_u32 v208, v64, 16, 1                                 // 000000006F80: D1C800D0 02052140
	v_add3_u32 v208, v64, v208, v211                           // 000000006F88: D1FF00D0 074FA140
	v_cndmask_b32_e64 v28, v208, v210, s[78:79]                // 000000006F90: D100001C 013BA5D0
	v_lshrrev_b32_e32 v28, 16, v28                             // 000000006F98: 20383890
	v_cmp_u_f32_e64 s[78:79], v65, v65                         // 000000006F9C: D048004E 00028341
	v_bfe_u32 v208, v65, 16, 1                                 // 000000006FA4: D1C800D0 02052141
	v_add3_u32 v208, v65, v208, v211                           // 000000006FAC: D1FF00D0 074FA141
	v_cndmask_b32_e64 v29, v208, v210, s[78:79]                // 000000006FB4: D100001D 013BA5D0
	v_and_or_b32 v64, v29, v209, v28                           // 000000006FBC: D2010040 0473A31D
	v_mfma_f32_16x16x16_bf16 v[180:183], v[114:115], v[156:157], v[180:183]// 000000006FC4: D3E100B4 06D33972
	v_cmp_u_f32_e64 s[78:79], v66, v66                         // 000000006FCC: D048004E 00028542
	v_bfe_u32 v208, v66, 16, 1                                 // 000000006FD4: D1C800D0 02052142
	v_add3_u32 v208, v66, v208, v211                           // 000000006FDC: D1FF00D0 074FA142
	v_cndmask_b32_e64 v28, v208, v210, s[78:79]                // 000000006FE4: D100001C 013BA5D0
	v_lshrrev_b32_e32 v28, 16, v28                             // 000000006FEC: 20383890
	v_cmp_u_f32_e64 s[78:79], v67, v67                         // 000000006FF0: D048004E 00028743
	v_bfe_u32 v208, v67, 16, 1                                 // 000000006FF8: D1C800D0 02052143
	v_add3_u32 v208, v67, v208, v211                           // 000000007000: D1FF00D0 074FA143
	v_cndmask_b32_e64 v29, v208, v210, s[78:79]                // 000000007008: D100001D 013BA5D0
	v_and_or_b32 v65, v29, v209, v28                           // 000000007010: D2010041 0473A31D
	v_mfma_f32_16x16x16_bf16 v[184:187], v[116:117], v[156:157], v[184:187]// 000000007018: D3E100B8 06E33974
	v_mov_b32_dpp v16, v64 quad_perm:[1,0,3,2] row_mask:0xf bank_mask:0xf// 000000007020: 7E2002FA FF00B140
	v_perm_b32 v56, v16, v64, v15                              // 000000007028: D1ED0038 043E8110
	buffer_atomic_add_f32 v148, v7, s[32:35], 0 offen offset:256// 000000007030: E1341100 80089407
	v_mfma_f32_16x16x16_bf16 v[188:191], v[118:119], v[156:157], v[188:191]// 000000007038: D3E100BC 06F33976
	v_mov_b32_dpp v16, v65 quad_perm:[1,0,3,2] row_mask:0xf bank_mask:0xf// 000000007040: 7E2002FA FF00B141
	v_perm_b32 v57, v16, v65, v15                              // 000000007048: D1ED0039 043E8310
	buffer_atomic_add_f32 v149, v8, s[32:35], 0 offen offset:256// 000000007050: E1341100 80089508
	v_mfma_f32_16x16x16_bf16 v[192:195], v[120:121], v[156:157], v[192:195]// 000000007058: D3E100C0 07033978
	ds_write_b32 v13, v68 offset:6528                          // 000000007060: D81A1980 0000440D
	ds_write_b32 v13, v69 offset:7584                          // 000000007068: D81A1DA0 0000450D
	v_mfma_f32_16x16x16_bf16 v[196:199], v[122:123], v[156:157], v[196:199]// 000000007070: D3E100C4 0713397A
	ds_write_b32 v18, v56 offset:26112                         // 000000007078: D81A6600 00003812
	ds_write_b32 v18, v57 offset:26656                         // 000000007080: D81A6820 00003912
	v_mfma_f32_16x16x16_bf16 v[200:203], v[124:125], v[156:157], v[200:203]// 000000007088: D3E100C8 0723397C
	ds_write_b32 v13, v70 offset:8704                          // 000000007090: D81A2200 0000460D
	ds_write_b32 v13, v71 offset:9760                          // 000000007098: D81A2620 0000470D
	v_mfma_f32_16x16x16_bf16 v[204:207], v[126:127], v[156:157], v[204:207]// 0000000070A0: D3E100CC 0733397E
	ds_write_b32 v13, v72 offset:10880                         // 0000000070A8: D81A2A80 0000480D
	ds_write_b32 v13, v73 offset:11936                         // 0000000070B0: D81A2EA0 0000490D
	s_barrier                                                  // 0000000070B8: BF8A0000
	v_mfma_f32_16x16x16_bf16 a[96:99], a[72:73], v[64:65], a[96:99]// 0000000070BC: D3E18060 0D828148
	ds_read_b32 v128, v21 offset:41216                         // 0000000070C4: D86CA100 80000015
	ds_read_b32 v158, v21 offset:41472                         // 0000000070CC: D86CA200 9E000015
	v_mfma_f32_16x16x16_bf16 a[100:103], a[74:75], v[64:65], a[100:103]// 0000000070D4: D3E18064 0D92814A
	buffer_atomic_add_f32 v150, v7, s[32:35], 0 offen offset:384// 0000000070DC: E1341180 80089607
	buffer_atomic_add_f32 v151, v8, s[32:35], 0 offen offset:384// 0000000070E4: E1341180 80089708
	v_mfma_f32_16x16x16_bf16 a[104:107], a[76:77], v[64:65], a[104:107]// 0000000070EC: D3E18068 0DA2814C
	s_waitcnt lgkmcnt(6)                                       // 0000000070F4: BF8CC67F
	s_barrier                                                  // 0000000070F8: BF8A0000
	v_mfma_f32_16x16x16_bf16 a[108:111], a[78:79], v[64:65], a[108:111]// 0000000070FC: D3E1806C 0DB2814E
	s_mov_b64 exec, s[94:95]                                   // 000000007104: BEFE015E
	buffer_atomic_add_f32 v152, v7, s[32:35], 0 offen offset:512// 000000007108: E1341200 80089807
	s_mov_b32 exec_lo, -1                                      // 000000007110: BEFE00C1
	s_mov_b32 exec_hi, -1                                      // 000000007114: BEFF00C1
	v_mfma_f32_16x16x16_bf16 a[112:115], a[80:81], v[64:65], a[112:115]// 000000007118: D3E18070 0DC28150
	ds_read_b128 v[56:59], v17 offset:26112                    // 000000007120: D9FE6600 38000011
	v_mfma_f32_16x16x16_bf16 a[116:119], a[82:83], v[64:65], a[116:119]// 000000007128: D3E18074 0DD28152
	s_mov_b64 exec, s[94:95]                                   // 000000007130: BEFE015E
	buffer_atomic_add_f32 v153, v8, s[32:35], 0 offen offset:512// 000000007134: E1341200 80089908
	s_mov_b32 exec_lo, -1                                      // 00000000713C: BEFE00C1
	s_mov_b32 exec_hi, -1                                      // 000000007140: BEFF00C1
	v_mfma_f32_16x16x16_bf16 a[120:123], a[84:85], v[64:65], a[120:123]// 000000007144: D3E18078 0DE28154
	ds_read_b128 v[60:63], v17 offset:27264                    // 00000000714C: D9FE6A80 3C000011
	v_mfma_f32_16x16x16_bf16 a[124:127], a[86:87], v[64:65], a[124:127]// 000000007154: D3E1807C 0DF28156
	s_mov_b64 exec, s[96:97]                                   // 00000000715C: BEFE0160
	buffer_atomic_add_f32 v154, v7, s[32:35], 0 offen offset:640// 000000007160: E1341280 80089A07
	s_mov_b32 exec_lo, -1                                      // 000000007168: BEFE00C1
	s_mov_b32 exec_hi, -1                                      // 00000000716C: BEFF00C1
	v_mfma_f32_16x16x16_bf16 a[128:131], a[88:89], v[64:65], a[128:131]// 000000007170: D3E18080 0E028158
	ds_write_b32 v13, v74 offset:19584                         // 000000007178: D81A4C80 00004A0D
	ds_write_b32 v13, v75 offset:20640                         // 000000007180: D81A50A0 00004B0D
	v_mfma_f32_16x16x16_bf16 a[132:135], a[90:91], v[64:65], a[132:135]// 000000007188: D3E18084 0E12815A
	s_mov_b64 exec, s[96:97]                                   // 000000007190: BEFE0160
	buffer_atomic_add_f32 v155, v8, s[32:35], 0 offen offset:640// 000000007194: E1341280 80089B08
	s_mov_b32 exec_lo, -1                                      // 00000000719C: BEFE00C1
	s_mov_b32 exec_hi, -1                                      // 0000000071A0: BEFF00C1
	v_mfma_f32_16x16x16_bf16 a[136:139], a[92:93], v[64:65], a[136:139]// 0000000071A4: D3E18088 0E22815C
	ds_write_b32 v13, v76 offset:21760                         // 0000000071AC: D81A5500 00004C0D
	ds_write_b32 v13, v77 offset:22816                         // 0000000071B4: D81A5920 00004D0D
	v_mfma_f32_16x16x16_bf16 a[140:143], a[94:95], v[64:65], a[140:143]// 0000000071BC: D3E1808C 0E32815E
	ds_write_b32 v13, v78 offset:23936                         // 0000000071C4: D81A5D80 00004E0D
	ds_write_b32 v13, v79 offset:24992                         // 0000000071CC: D81A61A0 00004F0D
	s_waitcnt vmcnt(12) lgkmcnt(6)                             // 0000000071D4: BF8C067C
	s_barrier                                                  // 0000000071D8: BF8A0000
	v_mfma_f32_16x16x16_bf16 v[132:135], v[56:57], a[24:25], 0 // 0000000071DC: D3E10084 12023138
	ds_read_b128 a[72:75], v10                                 // 0000000071E4: DBFE0000 4800000A
	ds_read_b128 a[76:79], v10 offset:512                      // 0000000071EC: DBFE0200 4C00000A
	ds_read_b128 a[80:83], v10 offset:2176                     // 0000000071F4: DBFE0880 5000000A
	buffer_load_dword v38, v1, s[8:11], 0 idxen                // 0000000071FC: E0502000 80022601
	buffer_load_dword v39, v2, s[8:11], 0 idxen                // 000000007204: E0502000 80022702
	v_mfma_f32_16x16x16_bf16 v[132:135], v[58:59], a[30:31], v[132:135]// 00000000720C: D3E10084 16123D3A
	v_mul_f32_e32 v128, s48, v128                              // 000000007214: 0B010030
	v_perm_b32 v68, v33, v32, s63                              // 000000007218: D1ED0044 00FE4121
	v_perm_b32 v69, v33, v32, s64                              // 000000007220: D1ED0045 01024121
	v_perm_b32 v70, v35, v34, s63                              // 000000007228: D1ED0046 00FE4523
	v_mfma_f32_16x16x16_bf16 v[132:135], v[60:61], a[36:37], v[132:135]// 000000007230: D3E10084 1612493C
	ds_read_b128 a[84:87], v10 offset:2688                     // 000000007238: DBFE0A80 5400000A
	ds_read_b128 a[88:91], v10 offset:4352                     // 000000007240: DBFE1100 5800000A
	ds_read_b128 a[92:95], v10 offset:4864                     // 000000007248: DBFE1300 5C00000A
	buffer_load_dword v40, v1, s[8:11], 0 idxen offset:128     // 000000007250: E0502080 80022801
	buffer_load_dword v41, v2, s[8:11], 0 idxen offset:128     // 000000007258: E0502080 80022902
	v_mfma_f32_16x16x16_bf16 v[132:135], v[62:63], a[42:43], v[132:135]// 000000007260: D3E10084 1612553E
	v_perm_b32 v71, v35, v34, s64                              // 000000007268: D1ED0047 01024523
	v_perm_b32 v72, v37, v36, s63                              // 000000007270: D1ED0048 00FE4925
	v_perm_b32 v73, v37, v36, s64                              // 000000007278: D1ED0049 01024925
	v_mfma_f32_16x16x16_bf16 v[136:139], v[56:57], a[26:27], 0 // 000000007280: D3E10088 12023538
	ds_read_b128 v[80:83], v10 offset:13056                    // 000000007288: D9FE3300 5000000A
	ds_read_b128 v[84:87], v10 offset:13568                    // 000000007290: D9FE3500 5400000A
	ds_read_b128 v[88:91], v10 offset:15232                    // 000000007298: D9FE3B80 5800000A
	buffer_load_dword v50, v212, s[20:23], 0 idxen             // 0000000072A0: E0502000 800532D4
	buffer_load_dword v51, v213, s[20:23], 0 idxen             // 0000000072A8: E0502000 800533D5
	v_mfma_f32_16x16x16_bf16 v[136:139], v[58:59], a[32:33], v[136:139]// 0000000072B0: D3E10088 1622413A
	v_perm_b32 v74, v45, v44, s63                              // 0000000072B8: D1ED004A 00FE592D
	v_perm_b32 v75, v45, v44, s64                              // 0000000072C0: D1ED004B 0102592D
	v_perm_b32 v76, v47, v46, s63                              // 0000000072C8: D1ED004C 00FE5D2F
	v_mov_b32_dpp v131, v128 quad_perm:[3,3,3,3] row_mask:0xf bank_mask:0xf// 0000000072D0: 7F0602FA FF00FF80
	v_mov_b32_dpp v130, v128 quad_perm:[2,2,2,2] row_mask:0xf bank_mask:0xf// 0000000072D8: 7F0402FA FF00AA80
	v_mfma_f32_16x16x16_bf16 v[136:139], v[60:61], a[38:39], v[136:139]// 0000000072E0: D3E10088 16224D3C
	ds_read_b128 v[92:95], v10 offset:15744                    // 0000000072E8: D9FE3D80 5C00000A
	ds_read_b128 v[96:99], v10 offset:17408                    // 0000000072F0: D9FE4400 6000000A
	ds_read_b128 v[100:103], v10 offset:17920                  // 0000000072F8: D9FE4600 6400000A
	buffer_load_dword v52, v212, s[20:23], 0 idxen offset:128  // 000000007300: E0502080 800534D4
	buffer_load_dword v53, v213, s[20:23], 0 idxen offset:128  // 000000007308: E0502080 800535D5
	v_mfma_f32_16x16x16_bf16 v[136:139], v[62:63], a[44:45], v[136:139]// 000000007310: D3E10088 1622593E
	v_perm_b32 v77, v47, v46, s64                              // 000000007318: D1ED004D 01025D2F
	v_perm_b32 v78, v49, v48, s63                              // 000000007320: D1ED004E 00FE6131
	v_perm_b32 v79, v49, v48, s64                              // 000000007328: D1ED004F 01026131
	v_mov_b32_dpp v129, v128 quad_perm:[1,1,1,1] row_mask:0xf bank_mask:0xf// 000000007330: 7F0202FA FF005580
	v_mov_b32_dpp v128, v128 quad_perm:[0,0,0,0] row_mask:0xf bank_mask:0xf// 000000007338: 7F0002FA FF000080
	v_mfma_f32_16x16x16_bf16 v[140:143], v[56:57], a[28:29], 0 // 000000007340: D3E1008C 12023938
	buffer_load_dword v9, s[24:27], 0 idxen lds                // 000000007348: E0512000 80060009
	v_mov_b32_e32 v42, 0                                       // 000000007350: 7E540280
	s_mov_b64 exec, s[90:91]                                   // 000000007354: BEFE015A
	buffer_load_dword v42, v1, s[8:11], 0 idxen offset:256     // 000000007358: E0502100 80022A01
	s_mov_b32 exec_lo, -1                                      // 000000007360: BEFE00C1
	s_mov_b32 exec_hi, -1                                      // 000000007364: BEFF00C1
	v_mov_b32_e32 v43, 0                                       // 000000007368: 7E560280
	s_mov_b64 exec, s[90:91]                                   // 00000000736C: BEFE015A
	buffer_load_dword v43, v2, s[8:11], 0 idxen offset:256     // 000000007370: E0502100 80022B02
	s_mov_b32 exec_lo, -1                                      // 000000007378: BEFE00C1
	s_mov_b32 exec_hi, -1                                      // 00000000737C: BEFF00C1
	v_mfma_f32_16x16x16_bf16 v[140:143], v[58:59], a[34:35], v[140:143]// 000000007380: D3E1008C 1632453A
	s_add_u32 s60, 64, s59                                     // 000000007388: 803C3BC0
	s_cmp_lt_u32 s60, s58                                      // 00000000738C: BF0A3A3C
	s_cselect_b32 s68, s68, 0                                  // 000000007390: 85448044
	s_cselect_b32 s99, s99, 0                                  // 000000007394: 85638063
	;; [unrolled: 1-line block ×3, first 2 shown]
	v_mfma_f32_16x16x16_bf16 v[140:143], v[60:61], a[40:41], v[140:143]// 00000000739C: D3E1008C 1632513C
	v_mov_b32_e32 v54, 0                                       // 0000000073A4: 7E6C0280
	s_mov_b64 exec, s[90:91]                                   // 0000000073A8: BEFE015A
	buffer_load_dword v54, v212, s[20:23], 0 idxen offset:256  // 0000000073AC: E0502100 800536D4
	s_mov_b32 exec_lo, -1                                      // 0000000073B4: BEFE00C1
	s_mov_b32 exec_hi, -1                                      // 0000000073B8: BEFF00C1
	v_mov_b32_e32 v55, 0                                       // 0000000073BC: 7E6E0280
	s_mov_b64 exec, s[90:91]                                   // 0000000073C0: BEFE015A
	buffer_load_dword v55, v213, s[20:23], 0 idxen offset:256  // 0000000073C4: E0502100 800537D5
	s_mov_b32 exec_lo, -1                                      // 0000000073CC: BEFE00C1
	s_mov_b32 exec_hi, -1                                      // 0000000073D0: BEFF00C1
	v_add_u32_e32 v1, s68, v1                                  // 0000000073D4: 68020244
	v_add_u32_e32 v2, s68, v2                                  // 0000000073D8: 68040444
	v_add_u32_e32 v212, s99, v212                              // 0000000073DC: 69A9A863
	v_add_u32_e32 v213, s99, v213                              // 0000000073E0: 69ABAA63
	s_mov_b32 m0, s80                                          // 0000000073E4: BEFC0050
	v_add_u32_e32 v9, s69, v9                                  // 0000000073E8: 68121245
	v_mfma_f32_16x16x16_bf16 v[140:143], v[62:63], a[46:47], v[140:143]// 0000000073EC: D3E1008C 16325D3E
	s_cmp_ge_u32 s59, s73                                      // 0000000073F4: BF09493B
	s_cselect_b32 s66, s67, s66                                // 0000000073F8: 85424243
	s_addk_i32 s59, 0x10                                       // 0000000073FC: B73B0010
	s_nop 0                                                    // 000000007400: BF800000
	s_cmp_lt_i32 s59, s58                                      // 000000007404: BF043A3B
	s_cbranch_scc0 label_0AC1                                  // 000000007408: BF84FDBE
	s_waitcnt lgkmcnt(0)                                       // 00000000740C: BF8CC07F
	s_barrier                                                  // 000000007410: BF8A0000
	v_mfma_f32_16x16x16_bf16 v[56:59], a[72:73], a[0:1], 0     // 000000007414: D3E10038 1A020148
	v_mul_f32_e32 v132, s47, v132                              // 00000000741C: 0B09082F
	v_mul_f32_e32 v133, s47, v133                              // 000000007420: 0B0B0A2F
	v_mul_f32_e32 v134, s47, v134                              // 000000007424: 0B0D0C2F
	v_mul_f32_e32 v135, s47, v135                              // 000000007428: 0B0F0E2F
	v_mfma_f32_16x16x16_bf16 v[56:59], a[74:75], a[2:3], v[56:59]// 00000000742C: D3E10038 1CE2054A
	ds_write_b32 v11, v44 offset:13056                         // 000000007434: D81A3300 00002C0B
	ds_write_b32 v11, v45 offset:14112                         // 00000000743C: D81A3720 00002D0B
	ds_write_b32 v11, v46 offset:15232                         // 000000007444: D81A3B80 00002E0B
	v_mfma_f32_16x16x16_bf16 v[56:59], a[76:77], a[4:5], v[56:59]// 00000000744C: D3E10038 1CE2094C
	v_mul_f32_e32 v136, s47, v136                              // 000000007454: 0B11102F
	v_mul_f32_e32 v137, s47, v137                              // 000000007458: 0B13122F
	v_mul_f32_e32 v138, s47, v138                              // 00000000745C: 0B15142F
	v_mul_f32_e32 v139, s47, v139                              // 000000007460: 0B17162F
	v_mfma_f32_16x16x16_bf16 v[56:59], a[78:79], a[6:7], v[56:59]// 000000007464: D3E10038 1CE20D4E
	ds_write_b32 v11, v47 offset:16288                         // 00000000746C: D81A3FA0 00002F0B
	ds_write_b32 v11, v48 offset:17408                         // 000000007474: D81A4400 0000300B
	ds_write_b32 v11, v49 offset:18464                         // 00000000747C: D81A4820 0000310B
	v_mfma_f32_16x16x16_bf16 v[56:59], a[80:81], a[8:9], v[56:59]// 000000007484: D3E10038 1CE21150
	v_mul_f32_e32 v140, s47, v140                              // 00000000748C: 0B19182F
	v_mul_f32_e32 v141, s47, v141                              // 000000007490: 0B1B1A2F
	v_mul_f32_e32 v142, s47, v142                              // 000000007494: 0B1D1C2F
	v_mul_f32_e32 v143, s47, v143                              // 000000007498: 0B1F1E2F
	v_mfma_f32_16x16x16_bf16 v[56:59], a[82:83], a[10:11], v[56:59]// 00000000749C: D3E10038 1CE21552
	ds_write_b64 v20, v[132:133] offset:28416                  // 0000000074A4: D89A6F00 00008414
	ds_write_b64 v20, v[134:135] offset:28928                  // 0000000074AC: D89A7100 00008614
	v_mfma_f32_16x16x16_bf16 v[56:59], a[84:85], a[12:13], v[56:59]// 0000000074B4: D3E10038 1CE21954
	ds_write_b64 v20, v[136:137] offset:29440                  // 0000000074BC: D89A7300 00008814
	ds_write_b64 v20, v[138:139] offset:29952                  // 0000000074C4: D89A7500 00008A14
	v_mfma_f32_16x16x16_bf16 v[56:59], a[86:87], a[14:15], v[56:59]// 0000000074CC: D3E10038 1CE21D56
	ds_write_b64 v20, v[140:141] offset:30464                  // 0000000074D4: D89A7700 00008C14
	ds_write_b64 v20, v[142:143] offset:30976                  // 0000000074DC: D89A7900 00008E14
	v_mfma_f32_16x16x16_bf16 v[56:59], a[88:89], a[16:17], v[56:59]// 0000000074E4: D3E10038 1CE22158
	ds_read_b128 v[104:107], v12 offset:19584                  // 0000000074EC: D9FE4C80 6800000C
	v_mfma_f32_16x16x16_bf16 v[56:59], a[90:91], a[18:19], v[56:59]// 0000000074F4: D3E10038 1CE2255A
	ds_read_b128 v[108:111], v12 offset:20096                  // 0000000074FC: D9FE4E80 6C00000C
	v_mfma_f32_16x16x16_bf16 v[56:59], a[92:93], a[20:21], v[56:59]// 000000007504: D3E10038 1CE2295C
	ds_read_b128 v[112:115], v12 offset:21760                  // 00000000750C: D9FE5500 7000000C
	ds_read_b128 v[116:119], v12 offset:22272                  // 000000007514: D9FE5700 7400000C
	v_mfma_f32_16x16x16_bf16 v[56:59], a[94:95], a[22:23], v[56:59]// 00000000751C: D3E10038 1CE22D5E
	ds_read_b128 v[120:123], v12 offset:23936                  // 000000007524: D9FE5D80 7800000C
	ds_read_b128 v[124:127], v12 offset:24448                  // 00000000752C: D9FE5F80 7C00000C
	s_cmp_lt_i32 s74, 4                                        // 000000007534: BF04844A
	s_cbranch_scc0 label_0D79                                  // 000000007538: BF84002A
	s_mov_b32 s60, 0xffe0fffe                                  // 00000000753C: BEBC00FF FFE0FFFE
	s_mov_b32 s61, 0xe000fe00                                  // 000000007544: BEBD00FF E000FE00
	s_nop 0                                                    // 00000000754C: BF800000
	s_cmp_lt_i32 s74, s46                                      // 000000007550: BF042E4A
	s_cbranch_scc1 label_0D74                                  // 000000007554: BF85001E
	s_cmp_eq_i32 s74, s46                                      // 000000007558: BF002E4A
	s_cbranch_scc1 label_0D59                                  // 00000000755C: BF850001
	s_branch label_0D79                                        // 000000007560: BF820020

0000000000007564 <label_0D59>:
	v_cndmask_b32_e64 v56, v56, v159, s[60:61]                 // 000000007564: D1000038 00F33F38
	s_lshl_b32 s60, s60, 1                                     // 00000000756C: 8E3C813C
	s_lshl_b32 s61, s61, 1                                     // 000000007570: 8E3D813D
	s_and_b32 s60, 0xfffeffff, s60                             // 000000007574: 863C3CFF FFFEFFFF
	s_and_b32 s61, 0xfffeffff, s61                             // 00000000757C: 863D3DFF FFFEFFFF
	v_cndmask_b32_e64 v57, v57, v159, s[60:61]                 // 000000007584: D1000039 00F33F39
	s_lshl_b32 s60, s60, 1                                     // 00000000758C: 8E3C813C
	s_lshl_b32 s61, s61, 1                                     // 000000007590: 8E3D813D
	s_and_b32 s60, 0xfffeffff, s60                             // 000000007594: 863C3CFF FFFEFFFF
	s_and_b32 s61, 0xfffeffff, s61                             // 00000000759C: 863D3DFF FFFEFFFF
	v_cndmask_b32_e64 v58, v58, v159, s[60:61]                 // 0000000075A4: D100003A 00F33F3A
	s_lshl_b32 s60, s60, 1                                     // 0000000075AC: 8E3C813C
	s_lshl_b32 s61, s61, 1                                     // 0000000075B0: 8E3D813D
	s_and_b32 s60, 0xfffeffff, s60                             // 0000000075B4: 863C3CFF FFFEFFFF
	s_and_b32 s61, 0xfffeffff, s61                             // 0000000075BC: 863D3DFF FFFEFFFF
	v_cndmask_b32_e64 v59, v59, v159, s[60:61]                 // 0000000075C4: D100003B 00F33F3B
	s_branch label_0D79                                        // 0000000075CC: BF820005

00000000000075d0 <label_0D74>:
	v_mov_b32_e32 v56, v159                                    // 0000000075D0: 7E70039F
	v_mov_b32_e32 v57, v159                                    // 0000000075D4: 7E72039F
	v_mov_b32_e32 v58, v159                                    // 0000000075D8: 7E74039F
	v_mov_b32_e32 v59, v159                                    // 0000000075DC: 7E76039F
	s_branch label_0D79                                        // 0000000075E0: BF820000

00000000000075e4 <label_0D79>:
	s_cmp_lt_i32 s100, 64                                      // 0000000075E4: BF04C064
	s_cbranch_scc0 label_0D8A                                  // 0000000075E8: BF84000F
	v_and_b32_e32 v28, 15, v0                                  // 0000000075EC: 2638008F
	v_mul_i32_i24_e64 v29, s46, 16                             // 0000000075F0: D106001D 0001202E
	v_add_u32_e32 v28, v28, v29                                // 0000000075F8: 68383B1C
	v_cmp_lt_u32_e64 s[60:61], v28, s100                       // 0000000075FC: D0C9003C 0000C91C
	s_nop 1                                                    // 000000007604: BF800001
	v_cndmask_b32_e64 v56, v159, v56, s[60:61]                 // 000000007608: D1000038 00F2719F
	v_cndmask_b32_e64 v57, v159, v57, s[60:61]                 // 000000007610: D1000039 00F2739F
	v_cndmask_b32_e64 v58, v159, v58, s[60:61]                 // 000000007618: D100003A 00F2759F
	v_cndmask_b32_e64 v59, v159, v59, s[60:61]                 // 000000007620: D100003B 00F2779F

0000000000007628 <label_0D8A>:
	s_addk_i32 s74, 0x1                                        // 000000007628: B74A0001
	s_waitcnt lgkmcnt(6)                                       // 00000000762C: BF8CC67F
	s_barrier                                                  // 000000007630: BF8A0000
	v_mfma_f32_16x16x16_bf16 v[64:67], v[80:81], a[48:49], 0   // 000000007634: D3E10040 12026150
	v_fma_f32 v56, v56, s57, -v128                             // 00000000763C: D1CB0038 86007338
	v_fma_f32 v57, v57, s57, -v129                             // 000000007644: D1CB0039 86047339
	v_fma_f32 v58, v58, s57, -v130                             // 00000000764C: D1CB003A 8608733A
	v_fma_f32 v59, v59, s57, -v131                             // 000000007654: D1CB003B 860C733B
	v_mfma_f32_16x16x16_bf16 v[64:67], v[82:83], a[50:51], v[64:67]// 00000000765C: D3E10040 15026552
	ds_read_b128 a[72:75], v12 offset:6528                     // 000000007664: DBFE1980 4800000C
	ds_read_b128 a[76:79], v12 offset:7040                     // 00000000766C: DBFE1B80 4C00000C
	ds_write_b32 v11, v32                                      // 000000007674: D81A0000 0000200B
	ds_write_b32 v11, v33 offset:1056                          // 00000000767C: D81A0420 0000210B
	v_mfma_f32_16x16x16_bf16 v[64:67], v[84:85], a[52:53], v[64:67]// 000000007684: D3E10040 15026954
	v_exp_f32_e32 v56, v56                                     // 00000000768C: 7E704138
	v_mfma_f32_16x16x16_bf16 v[64:67], v[86:87], a[54:55], v[64:67]// 000000007690: D3E10040 15026D56
	ds_read_b128 a[80:83], v12 offset:8704                     // 000000007698: DBFE2200 5000000C
	ds_read_b128 a[84:87], v12 offset:9216                     // 0000000076A0: DBFE2400 5400000C
	ds_write_b32 v11, v34 offset:2176                          // 0000000076A8: D81A0880 0000220B
	v_mfma_f32_16x16x16_bf16 v[64:67], v[88:89], a[56:57], v[64:67]// 0000000076B0: D3E10040 15027158
	v_exp_f32_e32 v57, v57                                     // 0000000076B8: 7E724139
	v_mfma_f32_16x16x16_bf16 v[64:67], v[90:91], a[58:59], v[64:67]// 0000000076BC: D3E10040 1502755A
	ds_read_b128 a[88:91], v12 offset:10880                    // 0000000076C4: DBFE2A80 5800000C
	ds_read_b128 a[92:95], v12 offset:11392                    // 0000000076CC: DBFE2C80 5C00000C
	ds_write_b32 v11, v35 offset:3232                          // 0000000076D4: D81A0CA0 0000230B
	v_mfma_f32_16x16x16_bf16 v[64:67], v[92:93], a[60:61], v[64:67]// 0000000076DC: D3E10040 1502795C
	v_exp_f32_e32 v58, v58                                     // 0000000076E4: 7E74413A
	v_mfma_f32_16x16x16_bf16 v[64:67], v[94:95], a[62:63], v[64:67]// 0000000076E8: D3E10040 15027D5E
	ds_read_b64 v[144:145], v19 offset:28416                   // 0000000076F0: D8EC6F00 90000013
	ds_read_b64 v[146:147], v19 offset:30464                   // 0000000076F8: D8EC7700 92000013
	ds_read_b64 v[148:149], v19 offset:32512                   // 000000007700: D8EC7F00 94000013
	ds_write_b32 v11, v36 offset:4352                          // 000000007708: D81A1100 0000240B
	v_mfma_f32_16x16x16_bf16 v[64:67], v[96:97], a[64:65], v[64:67]// 000000007710: D3E10040 15028160
	v_exp_f32_e32 v59, v59                                     // 000000007718: 7E76413B
	v_mfma_f32_16x16x16_bf16 v[64:67], v[98:99], a[66:67], v[64:67]// 00000000771C: D3E10040 15028562
	ds_read_b64 v[150:151], v19 offset:34560                   // 000000007724: D8EC8700 96000013
	ds_read_b64 v[152:153], v19 offset:36608                   // 00000000772C: D8EC8F00 98000013
	ds_read_b64 v[154:155], v19 offset:38656                   // 000000007734: D8EC9700 9A000013
	ds_write_b32 v11, v37 offset:5408                          // 00000000773C: D81A1520 0000250B
	v_mfma_f32_16x16x16_bf16 v[64:67], v[100:101], a[68:69], v[64:67]// 000000007744: D3E10040 15028964
	v_cmp_u_f32_e64 s[78:79], v56, v56                         // 00000000774C: D048004E 00027138
	v_bfe_u32 v208, v56, 16, 1                                 // 000000007754: D1C800D0 02052138
	v_add3_u32 v208, v56, v208, v211                           // 00000000775C: D1FF00D0 074FA138
	v_cndmask_b32_e64 v28, v208, v210, s[78:79]                // 000000007764: D100001C 013BA5D0
	v_lshrrev_b32_e32 v28, 16, v28                             // 00000000776C: 20383890
	v_cmp_u_f32_e64 s[78:79], v57, v57                         // 000000007770: D048004E 00027339
	v_bfe_u32 v208, v57, 16, 1                                 // 000000007778: D1C800D0 02052139
	v_add3_u32 v208, v57, v208, v211                           // 000000007780: D1FF00D0 074FA139
	v_cndmask_b32_e64 v29, v208, v210, s[78:79]                // 000000007788: D100001D 013BA5D0
	v_and_or_b32 v156, v29, v209, v28                          // 000000007790: D201009C 0473A31D
	v_mfma_f32_16x16x16_bf16 v[64:67], v[102:103], a[70:71], v[64:67]// 000000007798: D3E10040 15028D66
	v_cmp_u_f32_e64 s[78:79], v58, v58                         // 0000000077A0: D048004E 0002753A
	v_bfe_u32 v208, v58, 16, 1                                 // 0000000077A8: D1C800D0 0205213A
	v_add3_u32 v208, v58, v208, v211                           // 0000000077B0: D1FF00D0 074FA13A
	v_cndmask_b32_e64 v28, v208, v210, s[78:79]                // 0000000077B8: D100001C 013BA5D0
	v_lshrrev_b32_e32 v28, 16, v28                             // 0000000077C0: 20383890
	v_cmp_u_f32_e64 s[78:79], v59, v59                         // 0000000077C4: D048004E 0002773B
	v_bfe_u32 v208, v59, 16, 1                                 // 0000000077CC: D1C800D0 0205213B
	v_add3_u32 v208, v59, v208, v211                           // 0000000077D4: D1FF00D0 074FA13B
	v_cndmask_b32_e64 v29, v208, v210, s[78:79]                // 0000000077DC: D100001D 013BA5D0
	v_and_or_b32 v157, v29, v209, v28                          // 0000000077E4: D201009D 0473A31D
	v_add_u32_e32 v7, s66, v7                                  // 0000000077EC: 680E0E42
	v_add_u32_e32 v8, s66, v8                                  // 0000000077F0: 68101042
	s_waitcnt lgkmcnt(0)                                       // 0000000077F4: BF8CC07F
	s_barrier                                                  // 0000000077F8: BF8A0000
	v_mfma_f32_16x16x16_bf16 v[160:163], v[104:105], v[156:157], v[160:163]// 0000000077FC: D3E100A0 06833968
	v_subrev_f32_dpp v64, v158, v64 quad_perm:[0,0,0,0] row_mask:0xf bank_mask:0xf// 000000007804: 068080FA FF00009E
	v_subrev_f32_dpp v65, v158, v65 quad_perm:[1,1,1,1] row_mask:0xf bank_mask:0xf// 00000000780C: 068282FA FF00559E
	buffer_atomic_add_f32 v144, v7, s[32:35], 0 offen          // 000000007814: E1341000 80089007
	v_mfma_f32_16x16x16_bf16 v[164:167], v[106:107], v[156:157], v[164:167]// 00000000781C: D3E100A4 0693396A
	v_subrev_f32_dpp v66, v158, v66 quad_perm:[2,2,2,2] row_mask:0xf bank_mask:0xf// 000000007824: 068484FA FF00AA9E
	v_subrev_f32_dpp v67, v158, v67 quad_perm:[3,3,3,3] row_mask:0xf bank_mask:0xf// 00000000782C: 068686FA FF00FF9E
	buffer_atomic_add_f32 v145, v8, s[32:35], 0 offen          // 000000007834: E1341000 80089108
	v_mfma_f32_16x16x16_bf16 v[168:171], v[108:109], v[156:157], v[168:171]// 00000000783C: D3E100A8 06A3396C
	v_mul_f32_e32 v64, v56, v64                                // 000000007844: 0A808138
	v_mul_f32_e32 v65, v57, v65                                // 000000007848: 0A828339
	buffer_atomic_add_f32 v146, v7, s[32:35], 0 offen offset:128// 00000000784C: E1341080 80089207
	v_mfma_f32_16x16x16_bf16 v[172:175], v[110:111], v[156:157], v[172:175]// 000000007854: D3E100AC 06B3396E
	v_mul_f32_e32 v66, v58, v66                                // 00000000785C: 0A84853A
	v_mul_f32_e32 v67, v59, v67                                // 000000007860: 0A86873B
	buffer_atomic_add_f32 v147, v8, s[32:35], 0 offen offset:128// 000000007864: E1341080 80089308
	v_mfma_f32_16x16x16_bf16 v[176:179], v[112:113], v[156:157], v[176:179]// 00000000786C: D3E100B0 06C33970
	v_cmp_u_f32_e64 s[78:79], v64, v64                         // 000000007874: D048004E 00028140
	v_bfe_u32 v208, v64, 16, 1                                 // 00000000787C: D1C800D0 02052140
	v_add3_u32 v208, v64, v208, v211                           // 000000007884: D1FF00D0 074FA140
	v_cndmask_b32_e64 v28, v208, v210, s[78:79]                // 00000000788C: D100001C 013BA5D0
	v_lshrrev_b32_e32 v28, 16, v28                             // 000000007894: 20383890
	v_cmp_u_f32_e64 s[78:79], v65, v65                         // 000000007898: D048004E 00028341
	v_bfe_u32 v208, v65, 16, 1                                 // 0000000078A0: D1C800D0 02052141
	v_add3_u32 v208, v65, v208, v211                           // 0000000078A8: D1FF00D0 074FA141
	v_cndmask_b32_e64 v29, v208, v210, s[78:79]                // 0000000078B0: D100001D 013BA5D0
	v_and_or_b32 v64, v29, v209, v28                           // 0000000078B8: D2010040 0473A31D
	v_mfma_f32_16x16x16_bf16 v[180:183], v[114:115], v[156:157], v[180:183]// 0000000078C0: D3E100B4 06D33972
	v_cmp_u_f32_e64 s[78:79], v66, v66                         // 0000000078C8: D048004E 00028542
	v_bfe_u32 v208, v66, 16, 1                                 // 0000000078D0: D1C800D0 02052142
	v_add3_u32 v208, v66, v208, v211                           // 0000000078D8: D1FF00D0 074FA142
	v_cndmask_b32_e64 v28, v208, v210, s[78:79]                // 0000000078E0: D100001C 013BA5D0
	v_lshrrev_b32_e32 v28, 16, v28                             // 0000000078E8: 20383890
	v_cmp_u_f32_e64 s[78:79], v67, v67                         // 0000000078EC: D048004E 00028743
	v_bfe_u32 v208, v67, 16, 1                                 // 0000000078F4: D1C800D0 02052143
	v_add3_u32 v208, v67, v208, v211                           // 0000000078FC: D1FF00D0 074FA143
	v_cndmask_b32_e64 v29, v208, v210, s[78:79]                // 000000007904: D100001D 013BA5D0
	v_and_or_b32 v65, v29, v209, v28                           // 00000000790C: D2010041 0473A31D
	v_mfma_f32_16x16x16_bf16 v[184:187], v[116:117], v[156:157], v[184:187]// 000000007914: D3E100B8 06E33974
	v_mov_b32_dpp v16, v64 quad_perm:[1,0,3,2] row_mask:0xf bank_mask:0xf// 00000000791C: 7E2002FA FF00B140
	v_perm_b32 v56, v16, v64, v15                              // 000000007924: D1ED0038 043E8110
	buffer_atomic_add_f32 v148, v7, s[32:35], 0 offen offset:256// 00000000792C: E1341100 80089407
	v_mfma_f32_16x16x16_bf16 v[188:191], v[118:119], v[156:157], v[188:191]// 000000007934: D3E100BC 06F33976
	v_mov_b32_dpp v16, v65 quad_perm:[1,0,3,2] row_mask:0xf bank_mask:0xf// 00000000793C: 7E2002FA FF00B141
	v_perm_b32 v57, v16, v65, v15                              // 000000007944: D1ED0039 043E8310
	buffer_atomic_add_f32 v149, v8, s[32:35], 0 offen offset:256// 00000000794C: E1341100 80089508
	v_mfma_f32_16x16x16_bf16 v[192:195], v[120:121], v[156:157], v[192:195]// 000000007954: D3E100C0 07033978
	ds_write_b32 v13, v68 offset:6528                          // 00000000795C: D81A1980 0000440D
	ds_write_b32 v13, v69 offset:7584                          // 000000007964: D81A1DA0 0000450D
	v_mfma_f32_16x16x16_bf16 v[196:199], v[122:123], v[156:157], v[196:199]// 00000000796C: D3E100C4 0713397A
	ds_write_b32 v18, v56 offset:26112                         // 000000007974: D81A6600 00003812
	ds_write_b32 v18, v57 offset:26656                         // 00000000797C: D81A6820 00003912
	v_mfma_f32_16x16x16_bf16 v[200:203], v[124:125], v[156:157], v[200:203]// 000000007984: D3E100C8 0723397C
	ds_write_b32 v13, v70 offset:8704                          // 00000000798C: D81A2200 0000460D
	ds_write_b32 v13, v71 offset:9760                          // 000000007994: D81A2620 0000470D
	v_mfma_f32_16x16x16_bf16 v[204:207], v[126:127], v[156:157], v[204:207]// 00000000799C: D3E100CC 0733397E
	ds_write_b32 v13, v72 offset:10880                         // 0000000079A4: D81A2A80 0000480D
	ds_write_b32 v13, v73 offset:11936                         // 0000000079AC: D81A2EA0 0000490D
	s_barrier                                                  // 0000000079B4: BF8A0000
	v_mfma_f32_16x16x16_bf16 a[96:99], a[72:73], v[64:65], a[96:99]// 0000000079B8: D3E18060 0D828148
	ds_read_b32 v128, v21 offset:40704                         // 0000000079C0: D86C9F00 80000015
	ds_read_b32 v158, v21 offset:40960                         // 0000000079C8: D86CA000 9E000015
	v_mfma_f32_16x16x16_bf16 a[100:103], a[74:75], v[64:65], a[100:103]// 0000000079D0: D3E18064 0D92814A
	buffer_atomic_add_f32 v150, v7, s[32:35], 0 offen offset:384// 0000000079D8: E1341180 80089607
	buffer_atomic_add_f32 v151, v8, s[32:35], 0 offen offset:384// 0000000079E0: E1341180 80089708
	v_mfma_f32_16x16x16_bf16 a[104:107], a[76:77], v[64:65], a[104:107]// 0000000079E8: D3E18068 0DA2814C
	s_waitcnt lgkmcnt(6)                                       // 0000000079F0: BF8CC67F
	s_barrier                                                  // 0000000079F4: BF8A0000
	v_mfma_f32_16x16x16_bf16 a[108:111], a[78:79], v[64:65], a[108:111]// 0000000079F8: D3E1806C 0DB2814E
	s_mov_b64 exec, s[94:95]                                   // 000000007A00: BEFE015E
	buffer_atomic_add_f32 v152, v7, s[32:35], 0 offen offset:512// 000000007A04: E1341200 80089807
	s_mov_b32 exec_lo, -1                                      // 000000007A0C: BEFE00C1
	s_mov_b32 exec_hi, -1                                      // 000000007A10: BEFF00C1
	v_mfma_f32_16x16x16_bf16 a[112:115], a[80:81], v[64:65], a[112:115]// 000000007A14: D3E18070 0DC28150
	ds_read_b128 v[56:59], v17 offset:26112                    // 000000007A1C: D9FE6600 38000011
	v_mfma_f32_16x16x16_bf16 a[116:119], a[82:83], v[64:65], a[116:119]// 000000007A24: D3E18074 0DD28152
	s_mov_b64 exec, s[94:95]                                   // 000000007A2C: BEFE015E
	buffer_atomic_add_f32 v153, v8, s[32:35], 0 offen offset:512// 000000007A30: E1341200 80089908
	s_mov_b32 exec_lo, -1                                      // 000000007A38: BEFE00C1
	s_mov_b32 exec_hi, -1                                      // 000000007A3C: BEFF00C1
	v_mfma_f32_16x16x16_bf16 a[120:123], a[84:85], v[64:65], a[120:123]// 000000007A40: D3E18078 0DE28154
	ds_read_b128 v[60:63], v17 offset:27264                    // 000000007A48: D9FE6A80 3C000011
	v_mfma_f32_16x16x16_bf16 a[124:127], a[86:87], v[64:65], a[124:127]// 000000007A50: D3E1807C 0DF28156
	s_mov_b64 exec, s[96:97]                                   // 000000007A58: BEFE0160
	buffer_atomic_add_f32 v154, v7, s[32:35], 0 offen offset:640// 000000007A5C: E1341280 80089A07
	s_mov_b32 exec_lo, -1                                      // 000000007A64: BEFE00C1
	s_mov_b32 exec_hi, -1                                      // 000000007A68: BEFF00C1
	v_mfma_f32_16x16x16_bf16 a[128:131], a[88:89], v[64:65], a[128:131]// 000000007A6C: D3E18080 0E028158
	ds_write_b32 v13, v74 offset:19584                         // 000000007A74: D81A4C80 00004A0D
	ds_write_b32 v13, v75 offset:20640                         // 000000007A7C: D81A50A0 00004B0D
	v_mfma_f32_16x16x16_bf16 a[132:135], a[90:91], v[64:65], a[132:135]// 000000007A84: D3E18084 0E12815A
	s_mov_b64 exec, s[96:97]                                   // 000000007A8C: BEFE0160
	buffer_atomic_add_f32 v155, v8, s[32:35], 0 offen offset:640// 000000007A90: E1341280 80089B08
	s_mov_b32 exec_lo, -1                                      // 000000007A98: BEFE00C1
	s_mov_b32 exec_hi, -1                                      // 000000007A9C: BEFF00C1
	v_mfma_f32_16x16x16_bf16 a[136:139], a[92:93], v[64:65], a[136:139]// 000000007AA0: D3E18088 0E22815C
	ds_write_b32 v13, v76 offset:21760                         // 000000007AA8: D81A5500 00004C0D
	ds_write_b32 v13, v77 offset:22816                         // 000000007AB0: D81A5920 00004D0D
	v_mfma_f32_16x16x16_bf16 a[140:143], a[94:95], v[64:65], a[140:143]// 000000007AB8: D3E1808C 0E32815E
	ds_write_b32 v13, v78 offset:23936                         // 000000007AC0: D81A5D80 00004E0D
	ds_write_b32 v13, v79 offset:24992                         // 000000007AC8: D81A61A0 00004F0D
	s_waitcnt vmcnt(12) lgkmcnt(6)                             // 000000007AD0: BF8C067C
	s_barrier                                                  // 000000007AD4: BF8A0000
	v_mfma_f32_16x16x16_bf16 v[132:135], v[56:57], a[24:25], 0 // 000000007AD8: D3E10084 12023138
	ds_read_b128 a[72:75], v10                                 // 000000007AE0: DBFE0000 4800000A
	ds_read_b128 a[76:79], v10 offset:512                      // 000000007AE8: DBFE0200 4C00000A
	ds_read_b128 a[80:83], v10 offset:2176                     // 000000007AF0: DBFE0880 5000000A
	buffer_load_dword v32, v1, s[8:11], 0 idxen                // 000000007AF8: E0502000 80022001
	buffer_load_dword v33, v2, s[8:11], 0 idxen                // 000000007B00: E0502000 80022102
	v_mfma_f32_16x16x16_bf16 v[132:135], v[58:59], a[30:31], v[132:135]// 000000007B08: D3E10084 16123D3A
	v_mul_f32_e32 v128, s48, v128                              // 000000007B10: 0B010030
	v_perm_b32 v68, v39, v38, s63                              // 000000007B14: D1ED0044 00FE4D27
	v_perm_b32 v69, v39, v38, s64                              // 000000007B1C: D1ED0045 01024D27
	v_perm_b32 v70, v41, v40, s63                              // 000000007B24: D1ED0046 00FE5129
	v_mfma_f32_16x16x16_bf16 v[132:135], v[60:61], a[36:37], v[132:135]// 000000007B2C: D3E10084 1612493C
	ds_read_b128 a[84:87], v10 offset:2688                     // 000000007B34: DBFE0A80 5400000A
	ds_read_b128 a[88:91], v10 offset:4352                     // 000000007B3C: DBFE1100 5800000A
	ds_read_b128 a[92:95], v10 offset:4864                     // 000000007B44: DBFE1300 5C00000A
	buffer_load_dword v34, v1, s[8:11], 0 idxen offset:128     // 000000007B4C: E0502080 80022201
	buffer_load_dword v35, v2, s[8:11], 0 idxen offset:128     // 000000007B54: E0502080 80022302
	v_mfma_f32_16x16x16_bf16 v[132:135], v[62:63], a[42:43], v[132:135]// 000000007B5C: D3E10084 1612553E
	v_perm_b32 v71, v41, v40, s64                              // 000000007B64: D1ED0047 01025129
	v_perm_b32 v72, v43, v42, s63                              // 000000007B6C: D1ED0048 00FE552B
	v_perm_b32 v73, v43, v42, s64                              // 000000007B74: D1ED0049 0102552B
	v_mfma_f32_16x16x16_bf16 v[136:139], v[56:57], a[26:27], 0 // 000000007B7C: D3E10088 12023538
	ds_read_b128 v[80:83], v10 offset:13056                    // 000000007B84: D9FE3300 5000000A
	ds_read_b128 v[84:87], v10 offset:13568                    // 000000007B8C: D9FE3500 5400000A
	ds_read_b128 v[88:91], v10 offset:15232                    // 000000007B94: D9FE3B80 5800000A
	buffer_load_dword v44, v212, s[20:23], 0 idxen             // 000000007B9C: E0502000 80052CD4
	buffer_load_dword v45, v213, s[20:23], 0 idxen             // 000000007BA4: E0502000 80052DD5
	v_mfma_f32_16x16x16_bf16 v[136:139], v[58:59], a[32:33], v[136:139]// 000000007BAC: D3E10088 1622413A
	v_perm_b32 v74, v51, v50, s63                              // 000000007BB4: D1ED004A 00FE6533
	v_perm_b32 v75, v51, v50, s64                              // 000000007BBC: D1ED004B 01026533
	v_perm_b32 v76, v53, v52, s63                              // 000000007BC4: D1ED004C 00FE6935
	v_mov_b32_dpp v131, v128 quad_perm:[3,3,3,3] row_mask:0xf bank_mask:0xf// 000000007BCC: 7F0602FA FF00FF80
	v_mov_b32_dpp v130, v128 quad_perm:[2,2,2,2] row_mask:0xf bank_mask:0xf// 000000007BD4: 7F0402FA FF00AA80
	v_mfma_f32_16x16x16_bf16 v[136:139], v[60:61], a[38:39], v[136:139]// 000000007BDC: D3E10088 16224D3C
	ds_read_b128 v[92:95], v10 offset:15744                    // 000000007BE4: D9FE3D80 5C00000A
	ds_read_b128 v[96:99], v10 offset:17408                    // 000000007BEC: D9FE4400 6000000A
	ds_read_b128 v[100:103], v10 offset:17920                  // 000000007BF4: D9FE4600 6400000A
	buffer_load_dword v46, v212, s[20:23], 0 idxen offset:128  // 000000007BFC: E0502080 80052ED4
	buffer_load_dword v47, v213, s[20:23], 0 idxen offset:128  // 000000007C04: E0502080 80052FD5
	v_mfma_f32_16x16x16_bf16 v[136:139], v[62:63], a[44:45], v[136:139]// 000000007C0C: D3E10088 1622593E
	v_perm_b32 v77, v53, v52, s64                              // 000000007C14: D1ED004D 01026935
	v_perm_b32 v78, v55, v54, s63                              // 000000007C1C: D1ED004E 00FE6D37
	v_perm_b32 v79, v55, v54, s64                              // 000000007C24: D1ED004F 01026D37
	v_mov_b32_dpp v129, v128 quad_perm:[1,1,1,1] row_mask:0xf bank_mask:0xf// 000000007C2C: 7F0202FA FF005580
	v_mov_b32_dpp v128, v128 quad_perm:[0,0,0,0] row_mask:0xf bank_mask:0xf// 000000007C34: 7F0002FA FF000080
	v_mfma_f32_16x16x16_bf16 v[140:143], v[56:57], a[28:29], 0 // 000000007C3C: D3E1008C 12023938
	buffer_load_dword v9, s[24:27], 0 idxen lds                // 000000007C44: E0512000 80060009
	v_mov_b32_e32 v36, 0                                       // 000000007C4C: 7E480280
	s_mov_b64 exec, s[90:91]                                   // 000000007C50: BEFE015A
	buffer_load_dword v36, v1, s[8:11], 0 idxen offset:256     // 000000007C54: E0502100 80022401
	s_mov_b32 exec_lo, -1                                      // 000000007C5C: BEFE00C1
	s_mov_b32 exec_hi, -1                                      // 000000007C60: BEFF00C1
	v_mov_b32_e32 v37, 0                                       // 000000007C64: 7E4A0280
	s_mov_b64 exec, s[90:91]                                   // 000000007C68: BEFE015A
	buffer_load_dword v37, v2, s[8:11], 0 idxen offset:256     // 000000007C6C: E0502100 80022502
	s_mov_b32 exec_lo, -1                                      // 000000007C74: BEFE00C1
	s_mov_b32 exec_hi, -1                                      // 000000007C78: BEFF00C1
	v_mfma_f32_16x16x16_bf16 v[140:143], v[58:59], a[34:35], v[140:143]// 000000007C7C: D3E1008C 1632453A
	s_add_u32 s60, 64, s59                                     // 000000007C84: 803C3BC0
	s_cmp_lt_u32 s60, s58                                      // 000000007C88: BF0A3A3C
	s_cselect_b32 s68, s68, 0                                  // 000000007C8C: 85448044
	s_cselect_b32 s99, s99, 0                                  // 000000007C90: 85638063
	s_cselect_b32 s69, s69, 0                                  // 000000007C94: 85458045
	v_mfma_f32_16x16x16_bf16 v[140:143], v[60:61], a[40:41], v[140:143]// 000000007C98: D3E1008C 1632513C
	v_mov_b32_e32 v48, 0                                       // 000000007CA0: 7E600280
	s_mov_b64 exec, s[90:91]                                   // 000000007CA4: BEFE015A
	buffer_load_dword v48, v212, s[20:23], 0 idxen offset:256  // 000000007CA8: E0502100 800530D4
	s_mov_b32 exec_lo, -1                                      // 000000007CB0: BEFE00C1
	s_mov_b32 exec_hi, -1                                      // 000000007CB4: BEFF00C1
	v_mov_b32_e32 v49, 0                                       // 000000007CB8: 7E620280
	s_mov_b64 exec, s[90:91]                                   // 000000007CBC: BEFE015A
	buffer_load_dword v49, v213, s[20:23], 0 idxen offset:256  // 000000007CC0: E0502100 800531D5
	s_mov_b32 exec_lo, -1                                      // 000000007CC8: BEFE00C1
	s_mov_b32 exec_hi, -1                                      // 000000007CCC: BEFF00C1
	v_add_u32_e32 v1, s68, v1                                  // 000000007CD0: 68020244
	v_add_u32_e32 v2, s68, v2                                  // 000000007CD4: 68040444
	v_add_u32_e32 v212, s99, v212                              // 000000007CD8: 69A9A863
	v_add_u32_e32 v213, s99, v213                              // 000000007CDC: 69ABAA63
	s_mov_b32 m0, s81                                          // 000000007CE0: BEFC0051
	v_add_u32_e32 v9, s69, v9                                  // 000000007CE4: 68121245
	v_mfma_f32_16x16x16_bf16 v[140:143], v[62:63], a[46:47], v[140:143]// 000000007CE8: D3E1008C 16325D3E
	s_cmp_ge_u32 s59, s73                                      // 000000007CF0: BF09493B
	s_cselect_b32 s66, s67, s66                                // 000000007CF4: 85424243
	s_addk_i32 s59, 0x10                                       // 000000007CF8: B73B0010
	s_nop 0                                                    // 000000007CFC: BF800000
	s_cmp_lt_i32 s59, s58                                      // 000000007D00: BF043A3B
	s_cbranch_scc0 label_0AC1                                  // 000000007D04: BF84FB7F
	s_branch label_0AC4                                        // 000000007D08: BF82FB81

0000000000007d0c <label_0F43>:
	v_add_u32_e32 v7, s66, v7                                  // 000000007D0C: 680E0E42
	v_add_u32_e32 v8, s66, v8                                  // 000000007D10: 68101042
	v_lshrrev_b32_e32 v28, 5, v0                               // 000000007D14: 20380085
	v_mul_i32_i24_e32 v25, 0x44, v28                           // 000000007D18: 0C3238FF 00000044
	v_and_b32_e32 v28, 31, v0                                  // 000000007D20: 2638009F
	v_mul_i32_i24_e32 v29, 2, v28                              // 000000007D24: 0C3A3882
	v_add_u32_e32 v25, v29, v25                                // 000000007D28: 6832331D
	s_mul_i32 s60, s46, 0x660                                  // 000000007D2C: 923CFF2E 00000660
	v_add_u32_e32 v25, s60, v25                                // 000000007D34: 6832323C
	v_lshlrev_b32_e32 v25, 2, v25                              // 000000007D38: 24323282
	v_mul_f32_e32 v132, s47, v132                              // 000000007D3C: 0B09082F
	v_mul_f32_e32 v133, s47, v133                              // 000000007D40: 0B0B0A2F
	v_mul_f32_e32 v134, s47, v134                              // 000000007D44: 0B0D0C2F
	v_mul_f32_e32 v135, s47, v135                              // 000000007D48: 0B0F0E2F
	v_mul_f32_e32 v136, s47, v136                              // 000000007D4C: 0B11102F
	v_mul_f32_e32 v137, s47, v137                              // 000000007D50: 0B13122F
	v_mul_f32_e32 v138, s47, v138                              // 000000007D54: 0B15142F
	v_mul_f32_e32 v139, s47, v139                              // 000000007D58: 0B17162F
	v_mul_f32_e32 v140, s47, v140                              // 000000007D5C: 0B19182F
	v_mul_f32_e32 v141, s47, v141                              // 000000007D60: 0B1B1A2F
	v_mul_f32_e32 v142, s47, v142                              // 000000007D64: 0B1D1C2F
	v_mul_f32_e32 v143, s47, v143                              // 000000007D68: 0B1F1E2F
	ds_write_b64 v20, v[132:133] offset:28416                  // 000000007D6C: D89A6F00 00008414
	ds_write_b64 v20, v[134:135] offset:28928                  // 000000007D74: D89A7100 00008614
	ds_write_b64 v20, v[136:137] offset:29440                  // 000000007D7C: D89A7300 00008814
	ds_write_b64 v20, v[138:139] offset:29952                  // 000000007D84: D89A7500 00008A14
	ds_write_b64 v20, v[140:141] offset:30464                  // 000000007D8C: D89A7700 00008C14
	ds_write_b64 v20, v[142:143] offset:30976                  // 000000007D94: D89A7900 00008E14
	s_waitcnt lgkmcnt(0)                                       // 000000007D9C: BF8CC07F
	s_barrier                                                  // 000000007DA0: BF8A0000
	ds_read_b64 v[144:145], v19 offset:28416                   // 000000007DA4: D8EC6F00 90000013
	ds_read_b64 v[146:147], v19 offset:30464                   // 000000007DAC: D8EC7700 92000013
	ds_read_b64 v[148:149], v19 offset:32512                   // 000000007DB4: D8EC7F00 94000013
	ds_read_b64 v[150:151], v19 offset:34560                   // 000000007DBC: D8EC8700 96000013
	ds_read_b64 v[152:153], v19 offset:36608                   // 000000007DC4: D8EC8F00 98000013
	ds_read_b64 v[154:155], v19 offset:38656                   // 000000007DCC: D8EC9700 9A000013
	s_waitcnt lgkmcnt(0)                                       // 000000007DD4: BF8CC07F
	s_barrier                                                  // 000000007DD8: BF8A0000
	buffer_atomic_add_f32 v144, v7, s[32:35], 0 offen          // 000000007DDC: E1341000 80089007
	buffer_atomic_add_f32 v145, v8, s[32:35], 0 offen          // 000000007DE4: E1341000 80089108
	buffer_atomic_add_f32 v146, v7, s[32:35], 0 offen offset:128// 000000007DEC: E1341080 80089207
	buffer_atomic_add_f32 v147, v8, s[32:35], 0 offen offset:128// 000000007DF4: E1341080 80089308
	buffer_atomic_add_f32 v148, v7, s[32:35], 0 offen offset:256// 000000007DFC: E1341100 80089407
	buffer_atomic_add_f32 v149, v8, s[32:35], 0 offen offset:256// 000000007E04: E1341100 80089508
	buffer_atomic_add_f32 v150, v7, s[32:35], 0 offen offset:384// 000000007E0C: E1341180 80089607
	buffer_atomic_add_f32 v151, v8, s[32:35], 0 offen offset:384// 000000007E14: E1341180 80089708
	s_mov_b64 exec, s[94:95]                                   // 000000007E1C: BEFE015E
	buffer_atomic_add_f32 v152, v7, s[32:35], 0 offen offset:512// 000000007E20: E1341200 80089807
	s_mov_b32 exec_lo, -1                                      // 000000007E28: BEFE00C1
	s_mov_b32 exec_hi, -1                                      // 000000007E2C: BEFF00C1
	s_mov_b64 exec, s[94:95]                                   // 000000007E30: BEFE015E
	buffer_atomic_add_f32 v153, v8, s[32:35], 0 offen offset:512// 000000007E34: E1341200 80089908
	s_mov_b32 exec_lo, -1                                      // 000000007E3C: BEFE00C1
	s_mov_b32 exec_hi, -1                                      // 000000007E40: BEFF00C1
	s_mov_b64 exec, s[96:97]                                   // 000000007E44: BEFE0160
	buffer_atomic_add_f32 v154, v7, s[32:35], 0 offen offset:640// 000000007E48: E1341280 80089A07
	s_mov_b32 exec_lo, -1                                      // 000000007E50: BEFE00C1
	s_mov_b32 exec_hi, -1                                      // 000000007E54: BEFF00C1
	s_mov_b64 exec, s[96:97]                                   // 000000007E58: BEFE0160
	buffer_atomic_add_f32 v155, v8, s[32:35], 0 offen offset:640// 000000007E5C: E1341280 80089B08
	s_mov_b32 exec_lo, -1                                      // 000000007E64: BEFE00C1
	s_mov_b32 exec_hi, -1                                      // 000000007E68: BEFF00C1
	v_lshrrev_b32_e32 v28, 3, v0                               // 000000007E6C: 20380083
	v_mul_i32_i24_e32 v24, 2, v28                              // 000000007E70: 0C303882
	v_and_b32_e32 v28, 7, v0                                   // 000000007E74: 26380087
	v_mul_i32_i24_e32 v29, 0x44, v28                           // 000000007E78: 0C3A38FF 00000044
	v_add_u32_e32 v24, v29, v24                                // 000000007E80: 6830311D
	s_mul_i32 s60, s46, 0x660                                  // 000000007E84: 923CFF2E 00000660
	v_add_u32_e32 v24, s60, v24                                // 000000007E8C: 6830303C
	v_lshlrev_b32_e32 v24, 2, v24                              // 000000007E90: 24303082
	v_and_b32_e32 v28, 7, v0                                   // 000000007E94: 26380087
	v_mov_b32_e32 v29, s98                                     // 000000007E98: 7E3A0262
	v_mov_b32_e32 v30, 0x80                                    // 000000007E9C: 7E3C02FF 00000080
	v_sub_u32_e32 v29, v29, v30                                // 000000007EA4: 6A3A3D1D
	v_lshrrev_b32_e32 v29, 3, v29                              // 000000007EA8: 203A3A83
	v_cmp_lt_u32_e64 s[92:93], v28, v29                        // 000000007EAC: D0C9005C 00023B1C
	v_accvgpr_read_b32 v30, a96                                // 000000007EB4: D3D8401E 18000160
	v_accvgpr_read_b32 v31, a97                                // 000000007EBC: D3D8401F 18000161
	v_mul_f32_e32 v30, s47, v30                                // 000000007EC4: 0A3C3C2F
	v_mul_f32_e32 v31, s47, v31                                // 000000007EC8: 0A3E3E2F
	v_cmp_u_f32_e64 s[78:79], v30, v30                         // 000000007ECC: D048004E 00023D1E
	v_bfe_u32 v208, v30, 16, 1                                 // 000000007ED4: D1C800D0 0205211E
	v_add3_u32 v208, v30, v208, v211                           // 000000007EDC: D1FF00D0 074FA11E
	v_cndmask_b32_e64 v28, v208, v210, s[78:79]                // 000000007EE4: D100001C 013BA5D0
	v_lshrrev_b32_e32 v28, 16, v28                             // 000000007EEC: 20383890
	v_cmp_u_f32_e64 s[78:79], v31, v31                         // 000000007EF0: D048004E 00023F1F
	v_bfe_u32 v208, v31, 16, 1                                 // 000000007EF8: D1C800D0 0205211F
	v_add3_u32 v208, v31, v208, v211                           // 000000007F00: D1FF00D0 074FA11F
	v_cndmask_b32_e64 v29, v208, v210, s[78:79]                // 000000007F08: D100001D 013BA5D0
	v_and_or_b32 v56, v29, v209, v28                           // 000000007F10: D2010038 0473A31D
	v_accvgpr_read_b32 v30, a98                                // 000000007F18: D3D8401E 18000162
	v_accvgpr_read_b32 v31, a99                                // 000000007F20: D3D8401F 18000163
	v_mul_f32_e32 v30, s47, v30                                // 000000007F28: 0A3C3C2F
	v_mul_f32_e32 v31, s47, v31                                // 000000007F2C: 0A3E3E2F
	v_cmp_u_f32_e64 s[78:79], v30, v30                         // 000000007F30: D048004E 00023D1E
	v_bfe_u32 v208, v30, 16, 1                                 // 000000007F38: D1C800D0 0205211E
	v_add3_u32 v208, v30, v208, v211                           // 000000007F40: D1FF00D0 074FA11E
	v_cndmask_b32_e64 v28, v208, v210, s[78:79]                // 000000007F48: D100001C 013BA5D0
	v_lshrrev_b32_e32 v28, 16, v28                             // 000000007F50: 20383890
	v_cmp_u_f32_e64 s[78:79], v31, v31                         // 000000007F54: D048004E 00023F1F
	v_bfe_u32 v208, v31, 16, 1                                 // 000000007F5C: D1C800D0 0205211F
	v_add3_u32 v208, v31, v208, v211                           // 000000007F64: D1FF00D0 074FA11F
	v_cndmask_b32_e64 v29, v208, v210, s[78:79]                // 000000007F6C: D100001D 013BA5D0
	v_and_or_b32 v57, v29, v209, v28                           // 000000007F74: D2010039 0473A31D
	v_accvgpr_read_b32 v30, a100                               // 000000007F7C: D3D8401E 18000164
	v_accvgpr_read_b32 v31, a101                               // 000000007F84: D3D8401F 18000165
	v_mul_f32_e32 v30, s47, v30                                // 000000007F8C: 0A3C3C2F
	v_mul_f32_e32 v31, s47, v31                                // 000000007F90: 0A3E3E2F
	v_cmp_u_f32_e64 s[78:79], v30, v30                         // 000000007F94: D048004E 00023D1E
	v_bfe_u32 v208, v30, 16, 1                                 // 000000007F9C: D1C800D0 0205211E
	v_add3_u32 v208, v30, v208, v211                           // 000000007FA4: D1FF00D0 074FA11E
	v_cndmask_b32_e64 v28, v208, v210, s[78:79]                // 000000007FAC: D100001C 013BA5D0
	v_lshrrev_b32_e32 v28, 16, v28                             // 000000007FB4: 20383890
	v_cmp_u_f32_e64 s[78:79], v31, v31                         // 000000007FB8: D048004E 00023F1F
	v_bfe_u32 v208, v31, 16, 1                                 // 000000007FC0: D1C800D0 0205211F
	v_add3_u32 v208, v31, v208, v211                           // 000000007FC8: D1FF00D0 074FA11F
	v_cndmask_b32_e64 v29, v208, v210, s[78:79]                // 000000007FD0: D100001D 013BA5D0
	v_and_or_b32 v58, v29, v209, v28                           // 000000007FD8: D201003A 0473A31D
	v_accvgpr_read_b32 v30, a102                               // 000000007FE0: D3D8401E 18000166
	v_accvgpr_read_b32 v31, a103                               // 000000007FE8: D3D8401F 18000167
	v_mul_f32_e32 v30, s47, v30                                // 000000007FF0: 0A3C3C2F
	v_mul_f32_e32 v31, s47, v31                                // 000000007FF4: 0A3E3E2F
	v_cmp_u_f32_e64 s[78:79], v30, v30                         // 000000007FF8: D048004E 00023D1E
	v_bfe_u32 v208, v30, 16, 1                                 // 000000008000: D1C800D0 0205211E
	v_add3_u32 v208, v30, v208, v211                           // 000000008008: D1FF00D0 074FA11E
	v_cndmask_b32_e64 v28, v208, v210, s[78:79]                // 000000008010: D100001C 013BA5D0
	v_lshrrev_b32_e32 v28, 16, v28                             // 000000008018: 20383890
	v_cmp_u_f32_e64 s[78:79], v31, v31                         // 00000000801C: D048004E 00023F1F
	v_bfe_u32 v208, v31, 16, 1                                 // 000000008024: D1C800D0 0205211F
	v_add3_u32 v208, v31, v208, v211                           // 00000000802C: D1FF00D0 074FA11F
	v_cndmask_b32_e64 v29, v208, v210, s[78:79]                // 000000008034: D100001D 013BA5D0
	v_and_or_b32 v59, v29, v209, v28                           // 00000000803C: D201003B 0473A31D
	v_accvgpr_read_b32 v30, a104                               // 000000008044: D3D8401E 18000168
	v_accvgpr_read_b32 v31, a105                               // 00000000804C: D3D8401F 18000169
	v_mul_f32_e32 v30, s47, v30                                // 000000008054: 0A3C3C2F
	v_mul_f32_e32 v31, s47, v31                                // 000000008058: 0A3E3E2F
	v_cmp_u_f32_e64 s[78:79], v30, v30                         // 00000000805C: D048004E 00023D1E
	v_bfe_u32 v208, v30, 16, 1                                 // 000000008064: D1C800D0 0205211E
	v_add3_u32 v208, v30, v208, v211                           // 00000000806C: D1FF00D0 074FA11E
	v_cndmask_b32_e64 v28, v208, v210, s[78:79]                // 000000008074: D100001C 013BA5D0
	v_lshrrev_b32_e32 v28, 16, v28                             // 00000000807C: 20383890
	v_cmp_u_f32_e64 s[78:79], v31, v31                         // 000000008080: D048004E 00023F1F
	v_bfe_u32 v208, v31, 16, 1                                 // 000000008088: D1C800D0 0205211F
	v_add3_u32 v208, v31, v208, v211                           // 000000008090: D1FF00D0 074FA11F
	v_cndmask_b32_e64 v29, v208, v210, s[78:79]                // 000000008098: D100001D 013BA5D0
	v_and_or_b32 v60, v29, v209, v28                           // 0000000080A0: D201003C 0473A31D
	v_accvgpr_read_b32 v30, a106                               // 0000000080A8: D3D8401E 1800016A
	v_accvgpr_read_b32 v31, a107                               // 0000000080B0: D3D8401F 1800016B
	v_mul_f32_e32 v30, s47, v30                                // 0000000080B8: 0A3C3C2F
	v_mul_f32_e32 v31, s47, v31                                // 0000000080BC: 0A3E3E2F
	v_cmp_u_f32_e64 s[78:79], v30, v30                         // 0000000080C0: D048004E 00023D1E
	v_bfe_u32 v208, v30, 16, 1                                 // 0000000080C8: D1C800D0 0205211E
	v_add3_u32 v208, v30, v208, v211                           // 0000000080D0: D1FF00D0 074FA11E
	v_cndmask_b32_e64 v28, v208, v210, s[78:79]                // 0000000080D8: D100001C 013BA5D0
	v_lshrrev_b32_e32 v28, 16, v28                             // 0000000080E0: 20383890
	v_cmp_u_f32_e64 s[78:79], v31, v31                         // 0000000080E4: D048004E 00023F1F
	v_bfe_u32 v208, v31, 16, 1                                 // 0000000080EC: D1C800D0 0205211F
	v_add3_u32 v208, v31, v208, v211                           // 0000000080F4: D1FF00D0 074FA11F
	v_cndmask_b32_e64 v29, v208, v210, s[78:79]                // 0000000080FC: D100001D 013BA5D0
	v_and_or_b32 v61, v29, v209, v28                           // 000000008104: D201003D 0473A31D
	v_accvgpr_read_b32 v30, a108                               // 00000000810C: D3D8401E 1800016C
	v_accvgpr_read_b32 v31, a109                               // 000000008114: D3D8401F 1800016D
	v_mul_f32_e32 v30, s47, v30                                // 00000000811C: 0A3C3C2F
	v_mul_f32_e32 v31, s47, v31                                // 000000008120: 0A3E3E2F
	v_cmp_u_f32_e64 s[78:79], v30, v30                         // 000000008124: D048004E 00023D1E
	v_bfe_u32 v208, v30, 16, 1                                 // 00000000812C: D1C800D0 0205211E
	v_add3_u32 v208, v30, v208, v211                           // 000000008134: D1FF00D0 074FA11E
	v_cndmask_b32_e64 v28, v208, v210, s[78:79]                // 00000000813C: D100001C 013BA5D0
	v_lshrrev_b32_e32 v28, 16, v28                             // 000000008144: 20383890
	v_cmp_u_f32_e64 s[78:79], v31, v31                         // 000000008148: D048004E 00023F1F
	v_bfe_u32 v208, v31, 16, 1                                 // 000000008150: D1C800D0 0205211F
	v_add3_u32 v208, v31, v208, v211                           // 000000008158: D1FF00D0 074FA11F
	v_cndmask_b32_e64 v29, v208, v210, s[78:79]                // 000000008160: D100001D 013BA5D0
	v_and_or_b32 v62, v29, v209, v28                           // 000000008168: D201003E 0473A31D
	v_accvgpr_read_b32 v30, a110                               // 000000008170: D3D8401E 1800016E
	v_accvgpr_read_b32 v31, a111                               // 000000008178: D3D8401F 1800016F
	v_mul_f32_e32 v30, s47, v30                                // 000000008180: 0A3C3C2F
	v_mul_f32_e32 v31, s47, v31                                // 000000008184: 0A3E3E2F
	v_cmp_u_f32_e64 s[78:79], v30, v30                         // 000000008188: D048004E 00023D1E
	v_bfe_u32 v208, v30, 16, 1                                 // 000000008190: D1C800D0 0205211E
	v_add3_u32 v208, v30, v208, v211                           // 000000008198: D1FF00D0 074FA11E
	v_cndmask_b32_e64 v28, v208, v210, s[78:79]                // 0000000081A0: D100001C 013BA5D0
	v_lshrrev_b32_e32 v28, 16, v28                             // 0000000081A8: 20383890
	v_cmp_u_f32_e64 s[78:79], v31, v31                         // 0000000081AC: D048004E 00023F1F
	v_bfe_u32 v208, v31, 16, 1                                 // 0000000081B4: D1C800D0 0205211F
	v_add3_u32 v208, v31, v208, v211                           // 0000000081BC: D1FF00D0 074FA11F
	v_cndmask_b32_e64 v29, v208, v210, s[78:79]                // 0000000081C4: D100001D 013BA5D0
	v_and_or_b32 v63, v29, v209, v28                           // 0000000081CC: D201003F 0473A31D
	v_accvgpr_read_b32 v30, a112                               // 0000000081D4: D3D8401E 18000170
	v_accvgpr_read_b32 v31, a113                               // 0000000081DC: D3D8401F 18000171
	v_mul_f32_e32 v30, s47, v30                                // 0000000081E4: 0A3C3C2F
	v_mul_f32_e32 v31, s47, v31                                // 0000000081E8: 0A3E3E2F
	v_cmp_u_f32_e64 s[78:79], v30, v30                         // 0000000081EC: D048004E 00023D1E
	v_bfe_u32 v208, v30, 16, 1                                 // 0000000081F4: D1C800D0 0205211E
	v_add3_u32 v208, v30, v208, v211                           // 0000000081FC: D1FF00D0 074FA11E
	v_cndmask_b32_e64 v28, v208, v210, s[78:79]                // 000000008204: D100001C 013BA5D0
	v_lshrrev_b32_e32 v28, 16, v28                             // 00000000820C: 20383890
	v_cmp_u_f32_e64 s[78:79], v31, v31                         // 000000008210: D048004E 00023F1F
	v_bfe_u32 v208, v31, 16, 1                                 // 000000008218: D1C800D0 0205211F
	v_add3_u32 v208, v31, v208, v211                           // 000000008220: D1FF00D0 074FA11F
	v_cndmask_b32_e64 v29, v208, v210, s[78:79]                // 000000008228: D100001D 013BA5D0
	v_and_or_b32 v64, v29, v209, v28                           // 000000008230: D2010040 0473A31D
	v_accvgpr_read_b32 v30, a114                               // 000000008238: D3D8401E 18000172
	v_accvgpr_read_b32 v31, a115                               // 000000008240: D3D8401F 18000173
	v_mul_f32_e32 v30, s47, v30                                // 000000008248: 0A3C3C2F
	v_mul_f32_e32 v31, s47, v31                                // 00000000824C: 0A3E3E2F
	v_cmp_u_f32_e64 s[78:79], v30, v30                         // 000000008250: D048004E 00023D1E
	v_bfe_u32 v208, v30, 16, 1                                 // 000000008258: D1C800D0 0205211E
	v_add3_u32 v208, v30, v208, v211                           // 000000008260: D1FF00D0 074FA11E
	v_cndmask_b32_e64 v28, v208, v210, s[78:79]                // 000000008268: D100001C 013BA5D0
	v_lshrrev_b32_e32 v28, 16, v28                             // 000000008270: 20383890
	v_cmp_u_f32_e64 s[78:79], v31, v31                         // 000000008274: D048004E 00023F1F
	v_bfe_u32 v208, v31, 16, 1                                 // 00000000827C: D1C800D0 0205211F
	v_add3_u32 v208, v31, v208, v211                           // 000000008284: D1FF00D0 074FA11F
	v_cndmask_b32_e64 v29, v208, v210, s[78:79]                // 00000000828C: D100001D 013BA5D0
	v_and_or_b32 v65, v29, v209, v28                           // 000000008294: D2010041 0473A31D
	v_accvgpr_read_b32 v30, a116                               // 00000000829C: D3D8401E 18000174
	v_accvgpr_read_b32 v31, a117                               // 0000000082A4: D3D8401F 18000175
	v_mul_f32_e32 v30, s47, v30                                // 0000000082AC: 0A3C3C2F
	v_mul_f32_e32 v31, s47, v31                                // 0000000082B0: 0A3E3E2F
	v_cmp_u_f32_e64 s[78:79], v30, v30                         // 0000000082B4: D048004E 00023D1E
	v_bfe_u32 v208, v30, 16, 1                                 // 0000000082BC: D1C800D0 0205211E
	v_add3_u32 v208, v30, v208, v211                           // 0000000082C4: D1FF00D0 074FA11E
	v_cndmask_b32_e64 v28, v208, v210, s[78:79]                // 0000000082CC: D100001C 013BA5D0
	v_lshrrev_b32_e32 v28, 16, v28                             // 0000000082D4: 20383890
	v_cmp_u_f32_e64 s[78:79], v31, v31                         // 0000000082D8: D048004E 00023F1F
	v_bfe_u32 v208, v31, 16, 1                                 // 0000000082E0: D1C800D0 0205211F
	v_add3_u32 v208, v31, v208, v211                           // 0000000082E8: D1FF00D0 074FA11F
	v_cndmask_b32_e64 v29, v208, v210, s[78:79]                // 0000000082F0: D100001D 013BA5D0
	v_and_or_b32 v66, v29, v209, v28                           // 0000000082F8: D2010042 0473A31D
	v_accvgpr_read_b32 v30, a118                               // 000000008300: D3D8401E 18000176
	v_accvgpr_read_b32 v31, a119                               // 000000008308: D3D8401F 18000177
	v_mul_f32_e32 v30, s47, v30                                // 000000008310: 0A3C3C2F
	v_mul_f32_e32 v31, s47, v31                                // 000000008314: 0A3E3E2F
	v_cmp_u_f32_e64 s[78:79], v30, v30                         // 000000008318: D048004E 00023D1E
	v_bfe_u32 v208, v30, 16, 1                                 // 000000008320: D1C800D0 0205211E
	v_add3_u32 v208, v30, v208, v211                           // 000000008328: D1FF00D0 074FA11E
	v_cndmask_b32_e64 v28, v208, v210, s[78:79]                // 000000008330: D100001C 013BA5D0
	v_lshrrev_b32_e32 v28, 16, v28                             // 000000008338: 20383890
	v_cmp_u_f32_e64 s[78:79], v31, v31                         // 00000000833C: D048004E 00023F1F
	v_bfe_u32 v208, v31, 16, 1                                 // 000000008344: D1C800D0 0205211F
	v_add3_u32 v208, v31, v208, v211                           // 00000000834C: D1FF00D0 074FA11F
	v_cndmask_b32_e64 v29, v208, v210, s[78:79]                // 000000008354: D100001D 013BA5D0
	v_and_or_b32 v67, v29, v209, v28                           // 00000000835C: D2010043 0473A31D
	v_accvgpr_read_b32 v30, a120                               // 000000008364: D3D8401E 18000178
	v_accvgpr_read_b32 v31, a121                               // 00000000836C: D3D8401F 18000179
	v_mul_f32_e32 v30, s47, v30                                // 000000008374: 0A3C3C2F
	v_mul_f32_e32 v31, s47, v31                                // 000000008378: 0A3E3E2F
	v_cmp_u_f32_e64 s[78:79], v30, v30                         // 00000000837C: D048004E 00023D1E
	v_bfe_u32 v208, v30, 16, 1                                 // 000000008384: D1C800D0 0205211E
	v_add3_u32 v208, v30, v208, v211                           // 00000000838C: D1FF00D0 074FA11E
	v_cndmask_b32_e64 v28, v208, v210, s[78:79]                // 000000008394: D100001C 013BA5D0
	v_lshrrev_b32_e32 v28, 16, v28                             // 00000000839C: 20383890
	v_cmp_u_f32_e64 s[78:79], v31, v31                         // 0000000083A0: D048004E 00023F1F
	v_bfe_u32 v208, v31, 16, 1                                 // 0000000083A8: D1C800D0 0205211F
	v_add3_u32 v208, v31, v208, v211                           // 0000000083B0: D1FF00D0 074FA11F
	v_cndmask_b32_e64 v29, v208, v210, s[78:79]                // 0000000083B8: D100001D 013BA5D0
	v_and_or_b32 v68, v29, v209, v28                           // 0000000083C0: D2010044 0473A31D
	v_accvgpr_read_b32 v30, a122                               // 0000000083C8: D3D8401E 1800017A
	v_accvgpr_read_b32 v31, a123                               // 0000000083D0: D3D8401F 1800017B
	v_mul_f32_e32 v30, s47, v30                                // 0000000083D8: 0A3C3C2F
	v_mul_f32_e32 v31, s47, v31                                // 0000000083DC: 0A3E3E2F
	v_cmp_u_f32_e64 s[78:79], v30, v30                         // 0000000083E0: D048004E 00023D1E
	v_bfe_u32 v208, v30, 16, 1                                 // 0000000083E8: D1C800D0 0205211E
	v_add3_u32 v208, v30, v208, v211                           // 0000000083F0: D1FF00D0 074FA11E
	v_cndmask_b32_e64 v28, v208, v210, s[78:79]                // 0000000083F8: D100001C 013BA5D0
	v_lshrrev_b32_e32 v28, 16, v28                             // 000000008400: 20383890
	v_cmp_u_f32_e64 s[78:79], v31, v31                         // 000000008404: D048004E 00023F1F
	v_bfe_u32 v208, v31, 16, 1                                 // 00000000840C: D1C800D0 0205211F
	v_add3_u32 v208, v31, v208, v211                           // 000000008414: D1FF00D0 074FA11F
	v_cndmask_b32_e64 v29, v208, v210, s[78:79]                // 00000000841C: D100001D 013BA5D0
	v_and_or_b32 v69, v29, v209, v28                           // 000000008424: D2010045 0473A31D
	v_accvgpr_read_b32 v30, a124                               // 00000000842C: D3D8401E 1800017C
	v_accvgpr_read_b32 v31, a125                               // 000000008434: D3D8401F 1800017D
	v_mul_f32_e32 v30, s47, v30                                // 00000000843C: 0A3C3C2F
	v_mul_f32_e32 v31, s47, v31                                // 000000008440: 0A3E3E2F
	v_cmp_u_f32_e64 s[78:79], v30, v30                         // 000000008444: D048004E 00023D1E
	v_bfe_u32 v208, v30, 16, 1                                 // 00000000844C: D1C800D0 0205211E
	v_add3_u32 v208, v30, v208, v211                           // 000000008454: D1FF00D0 074FA11E
	v_cndmask_b32_e64 v28, v208, v210, s[78:79]                // 00000000845C: D100001C 013BA5D0
	v_lshrrev_b32_e32 v28, 16, v28                             // 000000008464: 20383890
	v_cmp_u_f32_e64 s[78:79], v31, v31                         // 000000008468: D048004E 00023F1F
	v_bfe_u32 v208, v31, 16, 1                                 // 000000008470: D1C800D0 0205211F
	v_add3_u32 v208, v31, v208, v211                           // 000000008478: D1FF00D0 074FA11F
	v_cndmask_b32_e64 v29, v208, v210, s[78:79]                // 000000008480: D100001D 013BA5D0
	v_and_or_b32 v70, v29, v209, v28                           // 000000008488: D2010046 0473A31D
	v_accvgpr_read_b32 v30, a126                               // 000000008490: D3D8401E 1800017E
	v_accvgpr_read_b32 v31, a127                               // 000000008498: D3D8401F 1800017F
	v_mul_f32_e32 v30, s47, v30                                // 0000000084A0: 0A3C3C2F
	v_mul_f32_e32 v31, s47, v31                                // 0000000084A4: 0A3E3E2F
	v_cmp_u_f32_e64 s[78:79], v30, v30                         // 0000000084A8: D048004E 00023D1E
	v_bfe_u32 v208, v30, 16, 1                                 // 0000000084B0: D1C800D0 0205211E
	v_add3_u32 v208, v30, v208, v211                           // 0000000084B8: D1FF00D0 074FA11E
	v_cndmask_b32_e64 v28, v208, v210, s[78:79]                // 0000000084C0: D100001C 013BA5D0
	v_lshrrev_b32_e32 v28, 16, v28                             // 0000000084C8: 20383890
	v_cmp_u_f32_e64 s[78:79], v31, v31                         // 0000000084CC: D048004E 00023F1F
	v_bfe_u32 v208, v31, 16, 1                                 // 0000000084D4: D1C800D0 0205211F
	v_add3_u32 v208, v31, v208, v211                           // 0000000084DC: D1FF00D0 074FA11F
	v_cndmask_b32_e64 v29, v208, v210, s[78:79]                // 0000000084E4: D100001D 013BA5D0
	v_and_or_b32 v71, v29, v209, v28                           // 0000000084EC: D2010047 0473A31D
	v_accvgpr_read_b32 v30, a128                               // 0000000084F4: D3D8401E 18000180
	v_accvgpr_read_b32 v31, a129                               // 0000000084FC: D3D8401F 18000181
	v_mul_f32_e32 v30, s47, v30                                // 000000008504: 0A3C3C2F
	v_mul_f32_e32 v31, s47, v31                                // 000000008508: 0A3E3E2F
	v_cmp_u_f32_e64 s[78:79], v30, v30                         // 00000000850C: D048004E 00023D1E
	v_bfe_u32 v208, v30, 16, 1                                 // 000000008514: D1C800D0 0205211E
	v_add3_u32 v208, v30, v208, v211                           // 00000000851C: D1FF00D0 074FA11E
	v_cndmask_b32_e64 v28, v208, v210, s[78:79]                // 000000008524: D100001C 013BA5D0
	v_lshrrev_b32_e32 v28, 16, v28                             // 00000000852C: 20383890
	v_cmp_u_f32_e64 s[78:79], v31, v31                         // 000000008530: D048004E 00023F1F
	v_bfe_u32 v208, v31, 16, 1                                 // 000000008538: D1C800D0 0205211F
	v_add3_u32 v208, v31, v208, v211                           // 000000008540: D1FF00D0 074FA11F
	v_cndmask_b32_e64 v29, v208, v210, s[78:79]                // 000000008548: D100001D 013BA5D0
	v_and_or_b32 v72, v29, v209, v28                           // 000000008550: D2010048 0473A31D
	v_accvgpr_read_b32 v30, a130                               // 000000008558: D3D8401E 18000182
	v_accvgpr_read_b32 v31, a131                               // 000000008560: D3D8401F 18000183
	v_mul_f32_e32 v30, s47, v30                                // 000000008568: 0A3C3C2F
	v_mul_f32_e32 v31, s47, v31                                // 00000000856C: 0A3E3E2F
	v_cmp_u_f32_e64 s[78:79], v30, v30                         // 000000008570: D048004E 00023D1E
	v_bfe_u32 v208, v30, 16, 1                                 // 000000008578: D1C800D0 0205211E
	v_add3_u32 v208, v30, v208, v211                           // 000000008580: D1FF00D0 074FA11E
	v_cndmask_b32_e64 v28, v208, v210, s[78:79]                // 000000008588: D100001C 013BA5D0
	v_lshrrev_b32_e32 v28, 16, v28                             // 000000008590: 20383890
	v_cmp_u_f32_e64 s[78:79], v31, v31                         // 000000008594: D048004E 00023F1F
	v_bfe_u32 v208, v31, 16, 1                                 // 00000000859C: D1C800D0 0205211F
	v_add3_u32 v208, v31, v208, v211                           // 0000000085A4: D1FF00D0 074FA11F
	v_cndmask_b32_e64 v29, v208, v210, s[78:79]                // 0000000085AC: D100001D 013BA5D0
	v_and_or_b32 v73, v29, v209, v28                           // 0000000085B4: D2010049 0473A31D
	v_accvgpr_read_b32 v30, a132                               // 0000000085BC: D3D8401E 18000184
	v_accvgpr_read_b32 v31, a133                               // 0000000085C4: D3D8401F 18000185
	v_mul_f32_e32 v30, s47, v30                                // 0000000085CC: 0A3C3C2F
	v_mul_f32_e32 v31, s47, v31                                // 0000000085D0: 0A3E3E2F
	v_cmp_u_f32_e64 s[78:79], v30, v30                         // 0000000085D4: D048004E 00023D1E
	v_bfe_u32 v208, v30, 16, 1                                 // 0000000085DC: D1C800D0 0205211E
	v_add3_u32 v208, v30, v208, v211                           // 0000000085E4: D1FF00D0 074FA11E
	v_cndmask_b32_e64 v28, v208, v210, s[78:79]                // 0000000085EC: D100001C 013BA5D0
	v_lshrrev_b32_e32 v28, 16, v28                             // 0000000085F4: 20383890
	v_cmp_u_f32_e64 s[78:79], v31, v31                         // 0000000085F8: D048004E 00023F1F
	v_bfe_u32 v208, v31, 16, 1                                 // 000000008600: D1C800D0 0205211F
	v_add3_u32 v208, v31, v208, v211                           // 000000008608: D1FF00D0 074FA11F
	v_cndmask_b32_e64 v29, v208, v210, s[78:79]                // 000000008610: D100001D 013BA5D0
	v_and_or_b32 v74, v29, v209, v28                           // 000000008618: D201004A 0473A31D
	v_accvgpr_read_b32 v30, a134                               // 000000008620: D3D8401E 18000186
	v_accvgpr_read_b32 v31, a135                               // 000000008628: D3D8401F 18000187
	v_mul_f32_e32 v30, s47, v30                                // 000000008630: 0A3C3C2F
	v_mul_f32_e32 v31, s47, v31                                // 000000008634: 0A3E3E2F
	v_cmp_u_f32_e64 s[78:79], v30, v30                         // 000000008638: D048004E 00023D1E
	v_bfe_u32 v208, v30, 16, 1                                 // 000000008640: D1C800D0 0205211E
	v_add3_u32 v208, v30, v208, v211                           // 000000008648: D1FF00D0 074FA11E
	v_cndmask_b32_e64 v28, v208, v210, s[78:79]                // 000000008650: D100001C 013BA5D0
	v_lshrrev_b32_e32 v28, 16, v28                             // 000000008658: 20383890
	v_cmp_u_f32_e64 s[78:79], v31, v31                         // 00000000865C: D048004E 00023F1F
	v_bfe_u32 v208, v31, 16, 1                                 // 000000008664: D1C800D0 0205211F
	v_add3_u32 v208, v31, v208, v211                           // 00000000866C: D1FF00D0 074FA11F
	v_cndmask_b32_e64 v29, v208, v210, s[78:79]                // 000000008674: D100001D 013BA5D0
	v_and_or_b32 v75, v29, v209, v28                           // 00000000867C: D201004B 0473A31D
	v_accvgpr_read_b32 v30, a136                               // 000000008684: D3D8401E 18000188
	v_accvgpr_read_b32 v31, a137                               // 00000000868C: D3D8401F 18000189
	v_mul_f32_e32 v30, s47, v30                                // 000000008694: 0A3C3C2F
	v_mul_f32_e32 v31, s47, v31                                // 000000008698: 0A3E3E2F
	v_cmp_u_f32_e64 s[78:79], v30, v30                         // 00000000869C: D048004E 00023D1E
	v_bfe_u32 v208, v30, 16, 1                                 // 0000000086A4: D1C800D0 0205211E
	v_add3_u32 v208, v30, v208, v211                           // 0000000086AC: D1FF00D0 074FA11E
	v_cndmask_b32_e64 v28, v208, v210, s[78:79]                // 0000000086B4: D100001C 013BA5D0
	v_lshrrev_b32_e32 v28, 16, v28                             // 0000000086BC: 20383890
	v_cmp_u_f32_e64 s[78:79], v31, v31                         // 0000000086C0: D048004E 00023F1F
	v_bfe_u32 v208, v31, 16, 1                                 // 0000000086C8: D1C800D0 0205211F
	v_add3_u32 v208, v31, v208, v211                           // 0000000086D0: D1FF00D0 074FA11F
	v_cndmask_b32_e64 v29, v208, v210, s[78:79]                // 0000000086D8: D100001D 013BA5D0
	v_and_or_b32 v76, v29, v209, v28                           // 0000000086E0: D201004C 0473A31D
	v_accvgpr_read_b32 v30, a138                               // 0000000086E8: D3D8401E 1800018A
	v_accvgpr_read_b32 v31, a139                               // 0000000086F0: D3D8401F 1800018B
	v_mul_f32_e32 v30, s47, v30                                // 0000000086F8: 0A3C3C2F
	v_mul_f32_e32 v31, s47, v31                                // 0000000086FC: 0A3E3E2F
	v_cmp_u_f32_e64 s[78:79], v30, v30                         // 000000008700: D048004E 00023D1E
	v_bfe_u32 v208, v30, 16, 1                                 // 000000008708: D1C800D0 0205211E
	v_add3_u32 v208, v30, v208, v211                           // 000000008710: D1FF00D0 074FA11E
	v_cndmask_b32_e64 v28, v208, v210, s[78:79]                // 000000008718: D100001C 013BA5D0
	v_lshrrev_b32_e32 v28, 16, v28                             // 000000008720: 20383890
	v_cmp_u_f32_e64 s[78:79], v31, v31                         // 000000008724: D048004E 00023F1F
	v_bfe_u32 v208, v31, 16, 1                                 // 00000000872C: D1C800D0 0205211F
	v_add3_u32 v208, v31, v208, v211                           // 000000008734: D1FF00D0 074FA11F
	v_cndmask_b32_e64 v29, v208, v210, s[78:79]                // 00000000873C: D100001D 013BA5D0
	v_and_or_b32 v77, v29, v209, v28                           // 000000008744: D201004D 0473A31D
	v_accvgpr_read_b32 v30, a140                               // 00000000874C: D3D8401E 1800018C
	v_accvgpr_read_b32 v31, a141                               // 000000008754: D3D8401F 1800018D
	v_mul_f32_e32 v30, s47, v30                                // 00000000875C: 0A3C3C2F
	v_mul_f32_e32 v31, s47, v31                                // 000000008760: 0A3E3E2F
	v_cmp_u_f32_e64 s[78:79], v30, v30                         // 000000008764: D048004E 00023D1E
	v_bfe_u32 v208, v30, 16, 1                                 // 00000000876C: D1C800D0 0205211E
	v_add3_u32 v208, v30, v208, v211                           // 000000008774: D1FF00D0 074FA11E
	v_cndmask_b32_e64 v28, v208, v210, s[78:79]                // 00000000877C: D100001C 013BA5D0
	v_lshrrev_b32_e32 v28, 16, v28                             // 000000008784: 20383890
	v_cmp_u_f32_e64 s[78:79], v31, v31                         // 000000008788: D048004E 00023F1F
	v_bfe_u32 v208, v31, 16, 1                                 // 000000008790: D1C800D0 0205211F
	v_add3_u32 v208, v31, v208, v211                           // 000000008798: D1FF00D0 074FA11F
	v_cndmask_b32_e64 v29, v208, v210, s[78:79]                // 0000000087A0: D100001D 013BA5D0
	v_and_or_b32 v78, v29, v209, v28                           // 0000000087A8: D201004E 0473A31D
	v_accvgpr_read_b32 v30, a142                               // 0000000087B0: D3D8401E 1800018E
	v_accvgpr_read_b32 v31, a143                               // 0000000087B8: D3D8401F 1800018F
	v_mul_f32_e32 v30, s47, v30                                // 0000000087C0: 0A3C3C2F
	v_mul_f32_e32 v31, s47, v31                                // 0000000087C4: 0A3E3E2F
	v_cmp_u_f32_e64 s[78:79], v30, v30                         // 0000000087C8: D048004E 00023D1E
	v_bfe_u32 v208, v30, 16, 1                                 // 0000000087D0: D1C800D0 0205211E
	v_add3_u32 v208, v30, v208, v211                           // 0000000087D8: D1FF00D0 074FA11E
	v_cndmask_b32_e64 v28, v208, v210, s[78:79]                // 0000000087E0: D100001C 013BA5D0
	v_lshrrev_b32_e32 v28, 16, v28                             // 0000000087E8: 20383890
	v_cmp_u_f32_e64 s[78:79], v31, v31                         // 0000000087EC: D048004E 00023F1F
	v_bfe_u32 v208, v31, 16, 1                                 // 0000000087F4: D1C800D0 0205211F
	v_add3_u32 v208, v31, v208, v211                           // 0000000087FC: D1FF00D0 074FA11F
	v_cndmask_b32_e64 v29, v208, v210, s[78:79]                // 000000008804: D100001D 013BA5D0
	v_and_or_b32 v79, v29, v209, v28                           // 00000000880C: D201004F 0473A31D
	ds_write_b64 v25, v[56:57]                                 // 000000008814: D89A0000 00003819
	ds_write_b64 v25, v[58:59] offset:544                      // 00000000881C: D89A0220 00003A19
	ds_write_b64 v25, v[60:61] offset:1088                     // 000000008824: D89A0440 00003C19
	ds_write_b64 v25, v[62:63] offset:1632                     // 00000000882C: D89A0660 00003E19
	ds_write_b64 v25, v[64:65] offset:2176                     // 000000008834: D89A0880 00004019
	ds_write_b64 v25, v[66:67] offset:2720                     // 00000000883C: D89A0AA0 00004219
	ds_write_b64 v25, v[68:69] offset:3264                     // 000000008844: D89A0CC0 00004419
	ds_write_b64 v25, v[70:71] offset:3808                     // 00000000884C: D89A0EE0 00004619
	ds_write_b64 v25, v[72:73] offset:4352                     // 000000008854: D89A1100 00004819
	ds_write_b64 v25, v[74:75] offset:4896                     // 00000000885C: D89A1320 00004A19
	ds_write_b64 v25, v[76:77] offset:5440                     // 000000008864: D89A1540 00004C19
	ds_write_b64 v25, v[78:79] offset:5984                     // 00000000886C: D89A1760 00004E19
	s_waitcnt lgkmcnt(0)                                       // 000000008874: BF8CC07F
	s_barrier                                                  // 000000008878: BF8A0000
	ds_read_b64 v[56:57], v24                                  // 00000000887C: D8EC0000 38000018
	ds_read_b64 v[58:59], v24 offset:128                       // 000000008884: D8EC0080 3A000018
	ds_read_b64 v[60:61], v24 offset:64                        // 00000000888C: D8EC0040 3C000018
	ds_read_b64 v[62:63], v24 offset:192                       // 000000008894: D8EC00C0 3E000018
	ds_read_b64 v[64:65], v24 offset:2176                      // 00000000889C: D8EC0880 40000018
	ds_read_b64 v[66:67], v24 offset:2304                      // 0000000088A4: D8EC0900 42000018
	ds_read_b64 v[68:69], v24 offset:2240                      // 0000000088AC: D8EC08C0 44000018
	ds_read_b64 v[70:71], v24 offset:2368                      // 0000000088B4: D8EC0940 46000018
	ds_read_b64 v[72:73], v24 offset:4352                      // 0000000088BC: D8EC1100 48000018
	ds_read_b64 v[74:75], v24 offset:4480                      // 0000000088C4: D8EC1180 4A000018
	ds_read_b64 v[76:77], v24 offset:4416                      // 0000000088CC: D8EC1140 4C000018
	ds_read_b64 v[78:79], v24 offset:4544                      // 0000000088D4: D8EC11C0 4E000018
	s_waitcnt lgkmcnt(0)                                       // 0000000088DC: BF8CC07F
	buffer_store_dwordx4 v[56:59], v3, s[36:39], 0 idxen       // 0000000088E0: E07C2000 80093803
	v_add_u32_e32 v3, 32, v3                                   // 0000000088E8: 680606A0
	buffer_store_dwordx4 v[60:63], v4, s[36:39], 0 idxen       // 0000000088EC: E07C2000 80093C04
	v_add_u32_e32 v4, 32, v4                                   // 0000000088F4: 680808A0
	buffer_store_dwordx4 v[64:67], v3, s[36:39], 0 idxen       // 0000000088F8: E07C2000 80094003
	v_add_u32_e32 v3, 32, v3                                   // 000000008900: 680606A0
	buffer_store_dwordx4 v[68:71], v4, s[36:39], 0 idxen       // 000000008904: E07C2000 80094404
	v_add_u32_e32 v4, 32, v4                                   // 00000000890C: 680808A0
	s_mov_b64 exec, s[92:93]                                   // 000000008910: BEFE015C
	buffer_store_dwordx4 v[72:75], v3, s[36:39], 0 idxen       // 000000008914: E07C2000 80094803
	s_mov_b32 exec_lo, -1                                      // 00000000891C: BEFE00C1
	s_mov_b32 exec_hi, -1                                      // 000000008920: BEFF00C1
	v_add_u32_e32 v3, 32, v3                                   // 000000008924: 680606A0
	s_mov_b64 exec, s[92:93]                                   // 000000008928: BEFE015C
	buffer_store_dwordx4 v[76:79], v4, s[36:39], 0 idxen       // 00000000892C: E07C2000 80094C04
	s_mov_b32 exec_lo, -1                                      // 000000008934: BEFE00C1
	s_mov_b32 exec_hi, -1                                      // 000000008938: BEFF00C1
	v_add_u32_e32 v4, 32, v4                                   // 00000000893C: 680808A0
	s_barrier                                                  // 000000008940: BF8A0000
	v_mov_b32_e32 v30, v160                                    // 000000008944: 7E3C03A0
	v_mov_b32_e32 v31, v161                                    // 000000008948: 7E3E03A1
	v_cmp_u_f32_e64 s[78:79], v30, v30                         // 00000000894C: D048004E 00023D1E
	v_bfe_u32 v208, v30, 16, 1                                 // 000000008954: D1C800D0 0205211E
	v_add3_u32 v208, v30, v208, v211                           // 00000000895C: D1FF00D0 074FA11E
	v_cndmask_b32_e64 v28, v208, v210, s[78:79]                // 000000008964: D100001C 013BA5D0
	v_lshrrev_b32_e32 v28, 16, v28                             // 00000000896C: 20383890
	v_cmp_u_f32_e64 s[78:79], v31, v31                         // 000000008970: D048004E 00023F1F
	v_bfe_u32 v208, v31, 16, 1                                 // 000000008978: D1C800D0 0205211F
	v_add3_u32 v208, v31, v208, v211                           // 000000008980: D1FF00D0 074FA11F
	v_cndmask_b32_e64 v29, v208, v210, s[78:79]                // 000000008988: D100001D 013BA5D0
	v_and_or_b32 v160, v29, v209, v28                          // 000000008990: D20100A0 0473A31D
	v_mov_b32_e32 v30, v162                                    // 000000008998: 7E3C03A2
	v_mov_b32_e32 v31, v163                                    // 00000000899C: 7E3E03A3
	v_cmp_u_f32_e64 s[78:79], v30, v30                         // 0000000089A0: D048004E 00023D1E
	v_bfe_u32 v208, v30, 16, 1                                 // 0000000089A8: D1C800D0 0205211E
	v_add3_u32 v208, v30, v208, v211                           // 0000000089B0: D1FF00D0 074FA11E
	v_cndmask_b32_e64 v28, v208, v210, s[78:79]                // 0000000089B8: D100001C 013BA5D0
	v_lshrrev_b32_e32 v28, 16, v28                             // 0000000089C0: 20383890
	v_cmp_u_f32_e64 s[78:79], v31, v31                         // 0000000089C4: D048004E 00023F1F
	v_bfe_u32 v208, v31, 16, 1                                 // 0000000089CC: D1C800D0 0205211F
	v_add3_u32 v208, v31, v208, v211                           // 0000000089D4: D1FF00D0 074FA11F
	v_cndmask_b32_e64 v29, v208, v210, s[78:79]                // 0000000089DC: D100001D 013BA5D0
	v_and_or_b32 v161, v29, v209, v28                          // 0000000089E4: D20100A1 0473A31D
	v_mov_b32_e32 v30, v164                                    // 0000000089EC: 7E3C03A4
	v_mov_b32_e32 v31, v165                                    // 0000000089F0: 7E3E03A5
	v_cmp_u_f32_e64 s[78:79], v30, v30                         // 0000000089F4: D048004E 00023D1E
	v_bfe_u32 v208, v30, 16, 1                                 // 0000000089FC: D1C800D0 0205211E
	v_add3_u32 v208, v30, v208, v211                           // 000000008A04: D1FF00D0 074FA11E
	v_cndmask_b32_e64 v28, v208, v210, s[78:79]                // 000000008A0C: D100001C 013BA5D0
	v_lshrrev_b32_e32 v28, 16, v28                             // 000000008A14: 20383890
	v_cmp_u_f32_e64 s[78:79], v31, v31                         // 000000008A18: D048004E 00023F1F
	v_bfe_u32 v208, v31, 16, 1                                 // 000000008A20: D1C800D0 0205211F
	v_add3_u32 v208, v31, v208, v211                           // 000000008A28: D1FF00D0 074FA11F
	v_cndmask_b32_e64 v29, v208, v210, s[78:79]                // 000000008A30: D100001D 013BA5D0
	v_and_or_b32 v162, v29, v209, v28                          // 000000008A38: D20100A2 0473A31D
	v_mov_b32_e32 v30, v166                                    // 000000008A40: 7E3C03A6
	v_mov_b32_e32 v31, v167                                    // 000000008A44: 7E3E03A7
	v_cmp_u_f32_e64 s[78:79], v30, v30                         // 000000008A48: D048004E 00023D1E
	v_bfe_u32 v208, v30, 16, 1                                 // 000000008A50: D1C800D0 0205211E
	v_add3_u32 v208, v30, v208, v211                           // 000000008A58: D1FF00D0 074FA11E
	v_cndmask_b32_e64 v28, v208, v210, s[78:79]                // 000000008A60: D100001C 013BA5D0
	v_lshrrev_b32_e32 v28, 16, v28                             // 000000008A68: 20383890
	v_cmp_u_f32_e64 s[78:79], v31, v31                         // 000000008A6C: D048004E 00023F1F
	v_bfe_u32 v208, v31, 16, 1                                 // 000000008A74: D1C800D0 0205211F
	v_add3_u32 v208, v31, v208, v211                           // 000000008A7C: D1FF00D0 074FA11F
	v_cndmask_b32_e64 v29, v208, v210, s[78:79]                // 000000008A84: D100001D 013BA5D0
	v_and_or_b32 v163, v29, v209, v28                          // 000000008A8C: D20100A3 0473A31D
	v_mov_b32_e32 v30, v168                                    // 000000008A94: 7E3C03A8
	v_mov_b32_e32 v31, v169                                    // 000000008A98: 7E3E03A9
	v_cmp_u_f32_e64 s[78:79], v30, v30                         // 000000008A9C: D048004E 00023D1E
	v_bfe_u32 v208, v30, 16, 1                                 // 000000008AA4: D1C800D0 0205211E
	v_add3_u32 v208, v30, v208, v211                           // 000000008AAC: D1FF00D0 074FA11E
	v_cndmask_b32_e64 v28, v208, v210, s[78:79]                // 000000008AB4: D100001C 013BA5D0
	v_lshrrev_b32_e32 v28, 16, v28                             // 000000008ABC: 20383890
	v_cmp_u_f32_e64 s[78:79], v31, v31                         // 000000008AC0: D048004E 00023F1F
	v_bfe_u32 v208, v31, 16, 1                                 // 000000008AC8: D1C800D0 0205211F
	v_add3_u32 v208, v31, v208, v211                           // 000000008AD0: D1FF00D0 074FA11F
	v_cndmask_b32_e64 v29, v208, v210, s[78:79]                // 000000008AD8: D100001D 013BA5D0
	v_and_or_b32 v164, v29, v209, v28                          // 000000008AE0: D20100A4 0473A31D
	v_mov_b32_e32 v30, v170                                    // 000000008AE8: 7E3C03AA
	v_mov_b32_e32 v31, v171                                    // 000000008AEC: 7E3E03AB
	v_cmp_u_f32_e64 s[78:79], v30, v30                         // 000000008AF0: D048004E 00023D1E
	v_bfe_u32 v208, v30, 16, 1                                 // 000000008AF8: D1C800D0 0205211E
	v_add3_u32 v208, v30, v208, v211                           // 000000008B00: D1FF00D0 074FA11E
	v_cndmask_b32_e64 v28, v208, v210, s[78:79]                // 000000008B08: D100001C 013BA5D0
	v_lshrrev_b32_e32 v28, 16, v28                             // 000000008B10: 20383890
	v_cmp_u_f32_e64 s[78:79], v31, v31                         // 000000008B14: D048004E 00023F1F
	v_bfe_u32 v208, v31, 16, 1                                 // 000000008B1C: D1C800D0 0205211F
	v_add3_u32 v208, v31, v208, v211                           // 000000008B24: D1FF00D0 074FA11F
	v_cndmask_b32_e64 v29, v208, v210, s[78:79]                // 000000008B2C: D100001D 013BA5D0
	v_and_or_b32 v165, v29, v209, v28                          // 000000008B34: D20100A5 0473A31D
	v_mov_b32_e32 v30, v172                                    // 000000008B3C: 7E3C03AC
	v_mov_b32_e32 v31, v173                                    // 000000008B40: 7E3E03AD
	v_cmp_u_f32_e64 s[78:79], v30, v30                         // 000000008B44: D048004E 00023D1E
	v_bfe_u32 v208, v30, 16, 1                                 // 000000008B4C: D1C800D0 0205211E
	v_add3_u32 v208, v30, v208, v211                           // 000000008B54: D1FF00D0 074FA11E
	v_cndmask_b32_e64 v28, v208, v210, s[78:79]                // 000000008B5C: D100001C 013BA5D0
	v_lshrrev_b32_e32 v28, 16, v28                             // 000000008B64: 20383890
	v_cmp_u_f32_e64 s[78:79], v31, v31                         // 000000008B68: D048004E 00023F1F
	v_bfe_u32 v208, v31, 16, 1                                 // 000000008B70: D1C800D0 0205211F
	v_add3_u32 v208, v31, v208, v211                           // 000000008B78: D1FF00D0 074FA11F
	v_cndmask_b32_e64 v29, v208, v210, s[78:79]                // 000000008B80: D100001D 013BA5D0
	v_and_or_b32 v166, v29, v209, v28                          // 000000008B88: D20100A6 0473A31D
	v_mov_b32_e32 v30, v174                                    // 000000008B90: 7E3C03AE
	v_mov_b32_e32 v31, v175                                    // 000000008B94: 7E3E03AF
	v_cmp_u_f32_e64 s[78:79], v30, v30                         // 000000008B98: D048004E 00023D1E
	v_bfe_u32 v208, v30, 16, 1                                 // 000000008BA0: D1C800D0 0205211E
	v_add3_u32 v208, v30, v208, v211                           // 000000008BA8: D1FF00D0 074FA11E
	v_cndmask_b32_e64 v28, v208, v210, s[78:79]                // 000000008BB0: D100001C 013BA5D0
	v_lshrrev_b32_e32 v28, 16, v28                             // 000000008BB8: 20383890
	v_cmp_u_f32_e64 s[78:79], v31, v31                         // 000000008BBC: D048004E 00023F1F
	v_bfe_u32 v208, v31, 16, 1                                 // 000000008BC4: D1C800D0 0205211F
	v_add3_u32 v208, v31, v208, v211                           // 000000008BCC: D1FF00D0 074FA11F
	v_cndmask_b32_e64 v29, v208, v210, s[78:79]                // 000000008BD4: D100001D 013BA5D0
	v_and_or_b32 v167, v29, v209, v28                          // 000000008BDC: D20100A7 0473A31D
	v_mov_b32_e32 v30, v176                                    // 000000008BE4: 7E3C03B0
	v_mov_b32_e32 v31, v177                                    // 000000008BE8: 7E3E03B1
	v_cmp_u_f32_e64 s[78:79], v30, v30                         // 000000008BEC: D048004E 00023D1E
	v_bfe_u32 v208, v30, 16, 1                                 // 000000008BF4: D1C800D0 0205211E
	v_add3_u32 v208, v30, v208, v211                           // 000000008BFC: D1FF00D0 074FA11E
	v_cndmask_b32_e64 v28, v208, v210, s[78:79]                // 000000008C04: D100001C 013BA5D0
	v_lshrrev_b32_e32 v28, 16, v28                             // 000000008C0C: 20383890
	v_cmp_u_f32_e64 s[78:79], v31, v31                         // 000000008C10: D048004E 00023F1F
	v_bfe_u32 v208, v31, 16, 1                                 // 000000008C18: D1C800D0 0205211F
	v_add3_u32 v208, v31, v208, v211                           // 000000008C20: D1FF00D0 074FA11F
	v_cndmask_b32_e64 v29, v208, v210, s[78:79]                // 000000008C28: D100001D 013BA5D0
	v_and_or_b32 v168, v29, v209, v28                          // 000000008C30: D20100A8 0473A31D
	v_mov_b32_e32 v30, v178                                    // 000000008C38: 7E3C03B2
	v_mov_b32_e32 v31, v179                                    // 000000008C3C: 7E3E03B3
	v_cmp_u_f32_e64 s[78:79], v30, v30                         // 000000008C40: D048004E 00023D1E
	v_bfe_u32 v208, v30, 16, 1                                 // 000000008C48: D1C800D0 0205211E
	v_add3_u32 v208, v30, v208, v211                           // 000000008C50: D1FF00D0 074FA11E
	v_cndmask_b32_e64 v28, v208, v210, s[78:79]                // 000000008C58: D100001C 013BA5D0
	v_lshrrev_b32_e32 v28, 16, v28                             // 000000008C60: 20383890
	v_cmp_u_f32_e64 s[78:79], v31, v31                         // 000000008C64: D048004E 00023F1F
	v_bfe_u32 v208, v31, 16, 1                                 // 000000008C6C: D1C800D0 0205211F
	v_add3_u32 v208, v31, v208, v211                           // 000000008C74: D1FF00D0 074FA11F
	v_cndmask_b32_e64 v29, v208, v210, s[78:79]                // 000000008C7C: D100001D 013BA5D0
	v_and_or_b32 v169, v29, v209, v28                          // 000000008C84: D20100A9 0473A31D
	v_mov_b32_e32 v30, v180                                    // 000000008C8C: 7E3C03B4
	v_mov_b32_e32 v31, v181                                    // 000000008C90: 7E3E03B5
	v_cmp_u_f32_e64 s[78:79], v30, v30                         // 000000008C94: D048004E 00023D1E
	v_bfe_u32 v208, v30, 16, 1                                 // 000000008C9C: D1C800D0 0205211E
	v_add3_u32 v208, v30, v208, v211                           // 000000008CA4: D1FF00D0 074FA11E
	v_cndmask_b32_e64 v28, v208, v210, s[78:79]                // 000000008CAC: D100001C 013BA5D0
	v_lshrrev_b32_e32 v28, 16, v28                             // 000000008CB4: 20383890
	v_cmp_u_f32_e64 s[78:79], v31, v31                         // 000000008CB8: D048004E 00023F1F
	v_bfe_u32 v208, v31, 16, 1                                 // 000000008CC0: D1C800D0 0205211F
	v_add3_u32 v208, v31, v208, v211                           // 000000008CC8: D1FF00D0 074FA11F
	v_cndmask_b32_e64 v29, v208, v210, s[78:79]                // 000000008CD0: D100001D 013BA5D0
	v_and_or_b32 v170, v29, v209, v28                          // 000000008CD8: D20100AA 0473A31D
	v_mov_b32_e32 v30, v182                                    // 000000008CE0: 7E3C03B6
	v_mov_b32_e32 v31, v183                                    // 000000008CE4: 7E3E03B7
	v_cmp_u_f32_e64 s[78:79], v30, v30                         // 000000008CE8: D048004E 00023D1E
	v_bfe_u32 v208, v30, 16, 1                                 // 000000008CF0: D1C800D0 0205211E
	v_add3_u32 v208, v30, v208, v211                           // 000000008CF8: D1FF00D0 074FA11E
	v_cndmask_b32_e64 v28, v208, v210, s[78:79]                // 000000008D00: D100001C 013BA5D0
	v_lshrrev_b32_e32 v28, 16, v28                             // 000000008D08: 20383890
	v_cmp_u_f32_e64 s[78:79], v31, v31                         // 000000008D0C: D048004E 00023F1F
	v_bfe_u32 v208, v31, 16, 1                                 // 000000008D14: D1C800D0 0205211F
	v_add3_u32 v208, v31, v208, v211                           // 000000008D1C: D1FF00D0 074FA11F
	v_cndmask_b32_e64 v29, v208, v210, s[78:79]                // 000000008D24: D100001D 013BA5D0
	v_and_or_b32 v171, v29, v209, v28                          // 000000008D2C: D20100AB 0473A31D
	v_mov_b32_e32 v30, v184                                    // 000000008D34: 7E3C03B8
	v_mov_b32_e32 v31, v185                                    // 000000008D38: 7E3E03B9
	v_cmp_u_f32_e64 s[78:79], v30, v30                         // 000000008D3C: D048004E 00023D1E
	v_bfe_u32 v208, v30, 16, 1                                 // 000000008D44: D1C800D0 0205211E
	v_add3_u32 v208, v30, v208, v211                           // 000000008D4C: D1FF00D0 074FA11E
	v_cndmask_b32_e64 v28, v208, v210, s[78:79]                // 000000008D54: D100001C 013BA5D0
	v_lshrrev_b32_e32 v28, 16, v28                             // 000000008D5C: 20383890
	v_cmp_u_f32_e64 s[78:79], v31, v31                         // 000000008D60: D048004E 00023F1F
	v_bfe_u32 v208, v31, 16, 1                                 // 000000008D68: D1C800D0 0205211F
	v_add3_u32 v208, v31, v208, v211                           // 000000008D70: D1FF00D0 074FA11F
	v_cndmask_b32_e64 v29, v208, v210, s[78:79]                // 000000008D78: D100001D 013BA5D0
	v_and_or_b32 v172, v29, v209, v28                          // 000000008D80: D20100AC 0473A31D
	v_mov_b32_e32 v30, v186                                    // 000000008D88: 7E3C03BA
	v_mov_b32_e32 v31, v187                                    // 000000008D8C: 7E3E03BB
	v_cmp_u_f32_e64 s[78:79], v30, v30                         // 000000008D90: D048004E 00023D1E
	v_bfe_u32 v208, v30, 16, 1                                 // 000000008D98: D1C800D0 0205211E
	v_add3_u32 v208, v30, v208, v211                           // 000000008DA0: D1FF00D0 074FA11E
	v_cndmask_b32_e64 v28, v208, v210, s[78:79]                // 000000008DA8: D100001C 013BA5D0
	v_lshrrev_b32_e32 v28, 16, v28                             // 000000008DB0: 20383890
	v_cmp_u_f32_e64 s[78:79], v31, v31                         // 000000008DB4: D048004E 00023F1F
	v_bfe_u32 v208, v31, 16, 1                                 // 000000008DBC: D1C800D0 0205211F
	v_add3_u32 v208, v31, v208, v211                           // 000000008DC4: D1FF00D0 074FA11F
	v_cndmask_b32_e64 v29, v208, v210, s[78:79]                // 000000008DCC: D100001D 013BA5D0
	v_and_or_b32 v173, v29, v209, v28                          // 000000008DD4: D20100AD 0473A31D
	v_mov_b32_e32 v30, v188                                    // 000000008DDC: 7E3C03BC
	v_mov_b32_e32 v31, v189                                    // 000000008DE0: 7E3E03BD
	v_cmp_u_f32_e64 s[78:79], v30, v30                         // 000000008DE4: D048004E 00023D1E
	v_bfe_u32 v208, v30, 16, 1                                 // 000000008DEC: D1C800D0 0205211E
	v_add3_u32 v208, v30, v208, v211                           // 000000008DF4: D1FF00D0 074FA11E
	v_cndmask_b32_e64 v28, v208, v210, s[78:79]                // 000000008DFC: D100001C 013BA5D0
	v_lshrrev_b32_e32 v28, 16, v28                             // 000000008E04: 20383890
	v_cmp_u_f32_e64 s[78:79], v31, v31                         // 000000008E08: D048004E 00023F1F
	v_bfe_u32 v208, v31, 16, 1                                 // 000000008E10: D1C800D0 0205211F
	v_add3_u32 v208, v31, v208, v211                           // 000000008E18: D1FF00D0 074FA11F
	v_cndmask_b32_e64 v29, v208, v210, s[78:79]                // 000000008E20: D100001D 013BA5D0
	v_and_or_b32 v174, v29, v209, v28                          // 000000008E28: D20100AE 0473A31D
	v_mov_b32_e32 v30, v190                                    // 000000008E30: 7E3C03BE
	v_mov_b32_e32 v31, v191                                    // 000000008E34: 7E3E03BF
	v_cmp_u_f32_e64 s[78:79], v30, v30                         // 000000008E38: D048004E 00023D1E
	v_bfe_u32 v208, v30, 16, 1                                 // 000000008E40: D1C800D0 0205211E
	v_add3_u32 v208, v30, v208, v211                           // 000000008E48: D1FF00D0 074FA11E
	v_cndmask_b32_e64 v28, v208, v210, s[78:79]                // 000000008E50: D100001C 013BA5D0
	v_lshrrev_b32_e32 v28, 16, v28                             // 000000008E58: 20383890
	v_cmp_u_f32_e64 s[78:79], v31, v31                         // 000000008E5C: D048004E 00023F1F
	v_bfe_u32 v208, v31, 16, 1                                 // 000000008E64: D1C800D0 0205211F
	v_add3_u32 v208, v31, v208, v211                           // 000000008E6C: D1FF00D0 074FA11F
	v_cndmask_b32_e64 v29, v208, v210, s[78:79]                // 000000008E74: D100001D 013BA5D0
	v_and_or_b32 v175, v29, v209, v28                          // 000000008E7C: D20100AF 0473A31D
	v_mov_b32_e32 v30, v192                                    // 000000008E84: 7E3C03C0
	v_mov_b32_e32 v31, v193                                    // 000000008E88: 7E3E03C1
	v_cmp_u_f32_e64 s[78:79], v30, v30                         // 000000008E8C: D048004E 00023D1E
	v_bfe_u32 v208, v30, 16, 1                                 // 000000008E94: D1C800D0 0205211E
	v_add3_u32 v208, v30, v208, v211                           // 000000008E9C: D1FF00D0 074FA11E
	v_cndmask_b32_e64 v28, v208, v210, s[78:79]                // 000000008EA4: D100001C 013BA5D0
	v_lshrrev_b32_e32 v28, 16, v28                             // 000000008EAC: 20383890
	v_cmp_u_f32_e64 s[78:79], v31, v31                         // 000000008EB0: D048004E 00023F1F
	v_bfe_u32 v208, v31, 16, 1                                 // 000000008EB8: D1C800D0 0205211F
	v_add3_u32 v208, v31, v208, v211                           // 000000008EC0: D1FF00D0 074FA11F
	v_cndmask_b32_e64 v29, v208, v210, s[78:79]                // 000000008EC8: D100001D 013BA5D0
	v_and_or_b32 v176, v29, v209, v28                          // 000000008ED0: D20100B0 0473A31D
	v_mov_b32_e32 v30, v194                                    // 000000008ED8: 7E3C03C2
	v_mov_b32_e32 v31, v195                                    // 000000008EDC: 7E3E03C3
	v_cmp_u_f32_e64 s[78:79], v30, v30                         // 000000008EE0: D048004E 00023D1E
	v_bfe_u32 v208, v30, 16, 1                                 // 000000008EE8: D1C800D0 0205211E
	v_add3_u32 v208, v30, v208, v211                           // 000000008EF0: D1FF00D0 074FA11E
	v_cndmask_b32_e64 v28, v208, v210, s[78:79]                // 000000008EF8: D100001C 013BA5D0
	v_lshrrev_b32_e32 v28, 16, v28                             // 000000008F00: 20383890
	v_cmp_u_f32_e64 s[78:79], v31, v31                         // 000000008F04: D048004E 00023F1F
	v_bfe_u32 v208, v31, 16, 1                                 // 000000008F0C: D1C800D0 0205211F
	v_add3_u32 v208, v31, v208, v211                           // 000000008F14: D1FF00D0 074FA11F
	v_cndmask_b32_e64 v29, v208, v210, s[78:79]                // 000000008F1C: D100001D 013BA5D0
	v_and_or_b32 v177, v29, v209, v28                          // 000000008F24: D20100B1 0473A31D
	v_mov_b32_e32 v30, v196                                    // 000000008F2C: 7E3C03C4
	v_mov_b32_e32 v31, v197                                    // 000000008F30: 7E3E03C5
	v_cmp_u_f32_e64 s[78:79], v30, v30                         // 000000008F34: D048004E 00023D1E
	v_bfe_u32 v208, v30, 16, 1                                 // 000000008F3C: D1C800D0 0205211E
	v_add3_u32 v208, v30, v208, v211                           // 000000008F44: D1FF00D0 074FA11E
	v_cndmask_b32_e64 v28, v208, v210, s[78:79]                // 000000008F4C: D100001C 013BA5D0
	v_lshrrev_b32_e32 v28, 16, v28                             // 000000008F54: 20383890
	v_cmp_u_f32_e64 s[78:79], v31, v31                         // 000000008F58: D048004E 00023F1F
	v_bfe_u32 v208, v31, 16, 1                                 // 000000008F60: D1C800D0 0205211F
	v_add3_u32 v208, v31, v208, v211                           // 000000008F68: D1FF00D0 074FA11F
	v_cndmask_b32_e64 v29, v208, v210, s[78:79]                // 000000008F70: D100001D 013BA5D0
	v_and_or_b32 v178, v29, v209, v28                          // 000000008F78: D20100B2 0473A31D
	v_mov_b32_e32 v30, v198                                    // 000000008F80: 7E3C03C6
	v_mov_b32_e32 v31, v199                                    // 000000008F84: 7E3E03C7
	v_cmp_u_f32_e64 s[78:79], v30, v30                         // 000000008F88: D048004E 00023D1E
	v_bfe_u32 v208, v30, 16, 1                                 // 000000008F90: D1C800D0 0205211E
	v_add3_u32 v208, v30, v208, v211                           // 000000008F98: D1FF00D0 074FA11E
	v_cndmask_b32_e64 v28, v208, v210, s[78:79]                // 000000008FA0: D100001C 013BA5D0
	v_lshrrev_b32_e32 v28, 16, v28                             // 000000008FA8: 20383890
	v_cmp_u_f32_e64 s[78:79], v31, v31                         // 000000008FAC: D048004E 00023F1F
	v_bfe_u32 v208, v31, 16, 1                                 // 000000008FB4: D1C800D0 0205211F
	v_add3_u32 v208, v31, v208, v211                           // 000000008FBC: D1FF00D0 074FA11F
	v_cndmask_b32_e64 v29, v208, v210, s[78:79]                // 000000008FC4: D100001D 013BA5D0
	v_and_or_b32 v179, v29, v209, v28                          // 000000008FCC: D20100B3 0473A31D
	v_mov_b32_e32 v30, v200                                    // 000000008FD4: 7E3C03C8
	v_mov_b32_e32 v31, v201                                    // 000000008FD8: 7E3E03C9
	v_cmp_u_f32_e64 s[78:79], v30, v30                         // 000000008FDC: D048004E 00023D1E
	v_bfe_u32 v208, v30, 16, 1                                 // 000000008FE4: D1C800D0 0205211E
	v_add3_u32 v208, v30, v208, v211                           // 000000008FEC: D1FF00D0 074FA11E
	v_cndmask_b32_e64 v28, v208, v210, s[78:79]                // 000000008FF4: D100001C 013BA5D0
	v_lshrrev_b32_e32 v28, 16, v28                             // 000000008FFC: 20383890
	v_cmp_u_f32_e64 s[78:79], v31, v31                         // 000000009000: D048004E 00023F1F
	v_bfe_u32 v208, v31, 16, 1                                 // 000000009008: D1C800D0 0205211F
	v_add3_u32 v208, v31, v208, v211                           // 000000009010: D1FF00D0 074FA11F
	v_cndmask_b32_e64 v29, v208, v210, s[78:79]                // 000000009018: D100001D 013BA5D0
	v_and_or_b32 v180, v29, v209, v28                          // 000000009020: D20100B4 0473A31D
	v_mov_b32_e32 v30, v202                                    // 000000009028: 7E3C03CA
	v_mov_b32_e32 v31, v203                                    // 00000000902C: 7E3E03CB
	v_cmp_u_f32_e64 s[78:79], v30, v30                         // 000000009030: D048004E 00023D1E
	v_bfe_u32 v208, v30, 16, 1                                 // 000000009038: D1C800D0 0205211E
	v_add3_u32 v208, v30, v208, v211                           // 000000009040: D1FF00D0 074FA11E
	v_cndmask_b32_e64 v28, v208, v210, s[78:79]                // 000000009048: D100001C 013BA5D0
	v_lshrrev_b32_e32 v28, 16, v28                             // 000000009050: 20383890
	v_cmp_u_f32_e64 s[78:79], v31, v31                         // 000000009054: D048004E 00023F1F
	v_bfe_u32 v208, v31, 16, 1                                 // 00000000905C: D1C800D0 0205211F
	v_add3_u32 v208, v31, v208, v211                           // 000000009064: D1FF00D0 074FA11F
	v_cndmask_b32_e64 v29, v208, v210, s[78:79]                // 00000000906C: D100001D 013BA5D0
	v_and_or_b32 v181, v29, v209, v28                          // 000000009074: D20100B5 0473A31D
	v_mov_b32_e32 v30, v204                                    // 00000000907C: 7E3C03CC
	v_mov_b32_e32 v31, v205                                    // 000000009080: 7E3E03CD
	v_cmp_u_f32_e64 s[78:79], v30, v30                         // 000000009084: D048004E 00023D1E
	v_bfe_u32 v208, v30, 16, 1                                 // 00000000908C: D1C800D0 0205211E
	v_add3_u32 v208, v30, v208, v211                           // 000000009094: D1FF00D0 074FA11E
	v_cndmask_b32_e64 v28, v208, v210, s[78:79]                // 00000000909C: D100001C 013BA5D0
	v_lshrrev_b32_e32 v28, 16, v28                             // 0000000090A4: 20383890
	v_cmp_u_f32_e64 s[78:79], v31, v31                         // 0000000090A8: D048004E 00023F1F
	v_bfe_u32 v208, v31, 16, 1                                 // 0000000090B0: D1C800D0 0205211F
	v_add3_u32 v208, v31, v208, v211                           // 0000000090B8: D1FF00D0 074FA11F
	v_cndmask_b32_e64 v29, v208, v210, s[78:79]                // 0000000090C0: D100001D 013BA5D0
	v_and_or_b32 v182, v29, v209, v28                          // 0000000090C8: D20100B6 0473A31D
	v_mov_b32_e32 v30, v206                                    // 0000000090D0: 7E3C03CE
	v_mov_b32_e32 v31, v207                                    // 0000000090D4: 7E3E03CF
	v_cmp_u_f32_e64 s[78:79], v30, v30                         // 0000000090D8: D048004E 00023D1E
	v_bfe_u32 v208, v30, 16, 1                                 // 0000000090E0: D1C800D0 0205211E
	v_add3_u32 v208, v30, v208, v211                           // 0000000090E8: D1FF00D0 074FA11E
	v_cndmask_b32_e64 v28, v208, v210, s[78:79]                // 0000000090F0: D100001C 013BA5D0
	v_lshrrev_b32_e32 v28, 16, v28                             // 0000000090F8: 20383890
	v_cmp_u_f32_e64 s[78:79], v31, v31                         // 0000000090FC: D048004E 00023F1F
	v_bfe_u32 v208, v31, 16, 1                                 // 000000009104: D1C800D0 0205211F
	v_add3_u32 v208, v31, v208, v211                           // 00000000910C: D1FF00D0 074FA11F
	v_cndmask_b32_e64 v29, v208, v210, s[78:79]                // 000000009114: D100001D 013BA5D0
	v_and_or_b32 v183, v29, v209, v28                          // 00000000911C: D20100B7 0473A31D
	ds_write_b64 v25, v[160:161]                               // 000000009124: D89A0000 0000A019
	ds_write_b64 v25, v[162:163] offset:544                    // 00000000912C: D89A0220 0000A219
	ds_write_b64 v25, v[164:165] offset:1088                   // 000000009134: D89A0440 0000A419
	ds_write_b64 v25, v[166:167] offset:1632                   // 00000000913C: D89A0660 0000A619
	ds_write_b64 v25, v[168:169] offset:2176                   // 000000009144: D89A0880 0000A819
	ds_write_b64 v25, v[170:171] offset:2720                   // 00000000914C: D89A0AA0 0000AA19
	ds_write_b64 v25, v[172:173] offset:3264                   // 000000009154: D89A0CC0 0000AC19
	ds_write_b64 v25, v[174:175] offset:3808                   // 00000000915C: D89A0EE0 0000AE19
	ds_write_b64 v25, v[176:177] offset:4352                   // 000000009164: D89A1100 0000B019
	ds_write_b64 v25, v[178:179] offset:4896                   // 00000000916C: D89A1320 0000B219
	ds_write_b64 v25, v[180:181] offset:5440                   // 000000009174: D89A1540 0000B419
	ds_write_b64 v25, v[182:183] offset:5984                   // 00000000917C: D89A1760 0000B619
	s_waitcnt lgkmcnt(0)                                       // 000000009184: BF8CC07F
	s_barrier                                                  // 000000009188: BF8A0000
	ds_read_b64 v[160:161], v24                                // 00000000918C: D8EC0000 A0000018
	ds_read_b64 v[162:163], v24 offset:128                     // 000000009194: D8EC0080 A2000018
	ds_read_b64 v[164:165], v24 offset:64                      // 00000000919C: D8EC0040 A4000018
	ds_read_b64 v[166:167], v24 offset:192                     // 0000000091A4: D8EC00C0 A6000018
	ds_read_b64 v[168:169], v24 offset:2176                    // 0000000091AC: D8EC0880 A8000018
	ds_read_b64 v[170:171], v24 offset:2304                    // 0000000091B4: D8EC0900 AA000018
	ds_read_b64 v[172:173], v24 offset:2240                    // 0000000091BC: D8EC08C0 AC000018
	ds_read_b64 v[174:175], v24 offset:2368                    // 0000000091C4: D8EC0940 AE000018
	ds_read_b64 v[176:177], v24 offset:4352                    // 0000000091CC: D8EC1100 B0000018
	ds_read_b64 v[178:179], v24 offset:4480                    // 0000000091D4: D8EC1180 B2000018
	ds_read_b64 v[180:181], v24 offset:4416                    // 0000000091DC: D8EC1140 B4000018
	ds_read_b64 v[182:183], v24 offset:4544                    // 0000000091E4: D8EC11C0 B6000018
	s_waitcnt lgkmcnt(0)                                       // 0000000091EC: BF8CC07F
	buffer_store_dwordx4 v[160:163], v5, s[40:43], 0 idxen     // 0000000091F0: E07C2000 800AA005
	v_add_u32_e32 v5, 32, v5                                   // 0000000091F8: 680A0AA0
	buffer_store_dwordx4 v[164:167], v6, s[40:43], 0 idxen     // 0000000091FC: E07C2000 800AA406
	v_add_u32_e32 v6, 32, v6                                   // 000000009204: 680C0CA0
	buffer_store_dwordx4 v[168:171], v5, s[40:43], 0 idxen     // 000000009208: E07C2000 800AA805
	v_add_u32_e32 v5, 32, v5                                   // 000000009210: 680A0AA0
	buffer_store_dwordx4 v[172:175], v6, s[40:43], 0 idxen     // 000000009214: E07C2000 800AAC06
	v_add_u32_e32 v6, 32, v6                                   // 00000000921C: 680C0CA0
	s_mov_b64 exec, s[92:93]                                   // 000000009220: BEFE015C
	buffer_store_dwordx4 v[176:179], v5, s[40:43], 0 idxen     // 000000009224: E07C2000 800AB005
	s_mov_b32 exec_lo, -1                                      // 00000000922C: BEFE00C1
	s_mov_b32 exec_hi, -1                                      // 000000009230: BEFF00C1
	v_add_u32_e32 v5, 32, v5                                   // 000000009234: 680A0AA0
	s_mov_b64 exec, s[92:93]                                   // 000000009238: BEFE015C
	buffer_store_dwordx4 v[180:183], v6, s[40:43], 0 idxen     // 00000000923C: E07C2000 800AB406
	s_mov_b32 exec_lo, -1                                      // 000000009244: BEFE00C1
	s_mov_b32 exec_hi, -1                                      // 000000009248: BEFF00C1
	v_add_u32_e32 v6, 32, v6                                   // 00000000924C: 680C0CA0
	s_waitcnt vmcnt(0) expcnt(0) lgkmcnt(0)                    // 000000009250: BF8C0000
	s_sub_i32 s60, s77, 1                                      // 000000009254: 81BC814D
	s_sub_i32 s2, s60, s2                                      // 000000009258: 8182023C
	s_addk_i32 s75, 0x1                                        // 00000000925C: B74B0001
	s_cmp_lt_i32 s75, s76                                      // 000000009260: BF044C4B
	s_cbranch_scc1 label_0168                                  // 000000009264: BF85ECCE
	s_endpgm                                                   // 000000009268: BF810000
